;; amdgpu-corpus repo=zjin-lcf/HeCBench kind=compiled arch=gfx1030 opt=O3
	.amdgcn_target "amdgcn-amd-amdhsa--gfx1030"
	.amdhsa_code_object_version 6
	.text
	.p2align	2                               ; -- Begin function _Z13ht_get_atomicP6loc_ht9cstr_typej
	.type	_Z13ht_get_atomicP6loc_ht9cstr_typej,@function
_Z13ht_get_atomicP6loc_ht9cstr_typej:   ; @_Z13ht_get_atomicP6loc_ht9cstr_typej
; %bb.0:
	s_waitcnt vmcnt(0) expcnt(0) lgkmcnt(0)
	v_and_b32_e32 v9, 3, v2
	v_cmp_gt_i32_e64 s5, 4, v4
	v_mov_b32_e32 v6, v5
	v_xor_b32_e32 v5, 0x3fb0bb5f, v4
	v_cmp_lt_i32_e32 vcc_lo, 3, v4
	v_cmp_eq_u32_e64 s4, 0, v9
	s_or_b32 s4, s4, s5
	s_and_saveexec_b32 s5, s4
	s_xor_b32 s5, exec_lo, s5
	s_cbranch_execz .LBB0_10
; %bb.1:
	v_mov_b32_e32 v8, v3
	v_mov_b32_e32 v9, v4
	;; [unrolled: 1-line block ×3, first 2 shown]
	s_and_saveexec_b32 s6, vcc_lo
	s_cbranch_execz .LBB0_5
; %bb.2:
	v_mov_b32_e32 v8, v3
	v_mov_b32_e32 v9, v4
	;; [unrolled: 1-line block ×3, first 2 shown]
	s_mov_b32 s7, 0
	.p2align	6
.LBB0_3:                                ; =>This Inner Loop Header: Depth=1
	flat_load_dword v10, v[7:8]
	v_mul_lo_u32 v5, 0x5bd1e995, v5
	v_add_co_u32 v7, vcc_lo, v7, 4
	v_cmp_gt_u32_e64 s4, 8, v9
	v_add_co_ci_u32_e64 v8, null, 0, v8, vcc_lo
	v_add_nc_u32_e32 v9, -4, v9
	s_or_b32 s7, s4, s7
	s_waitcnt vmcnt(0) lgkmcnt(0)
	v_mul_lo_u32 v10, 0x5bd1e995, v10
	v_xor_b32_sdwa v10, v10, v10 dst_sel:DWORD dst_unused:UNUSED_PAD src0_sel:BYTE_3 src1_sel:DWORD
	v_mul_lo_u32 v10, 0x5bd1e995, v10
	v_xor_b32_e32 v5, v10, v5
	s_andn2_b32 exec_lo, exec_lo, s7
	s_cbranch_execnz .LBB0_3
; %bb.4:
	s_or_b32 exec_lo, exec_lo, s7
.LBB0_5:
	s_or_b32 exec_lo, exec_lo, s6
	s_mov_b32 s4, 0
	s_mov_b32 s6, exec_lo
                                        ; implicit-def: $vgpr10
	v_cmpx_lt_i32_e32 1, v9
	s_xor_b32 s6, exec_lo, s6
	s_cbranch_execnz .LBB0_462
; %bb.6:
	s_andn2_saveexec_b32 s6, s6
	s_cbranch_execnz .LBB0_465
.LBB0_7:
	s_or_b32 exec_lo, exec_lo, s6
	s_and_saveexec_b32 s6, s4
	s_cbranch_execz .LBB0_9
.LBB0_8:
	flat_load_ubyte v5, v[7:8]
	s_waitcnt vmcnt(0) lgkmcnt(0)
	v_xor_b32_e32 v5, v10, v5
	v_mul_lo_u32 v5, 0x5bd1e995, v5
.LBB0_9:
	s_or_b32 exec_lo, exec_lo, s6
                                        ; implicit-def: $vgpr9
.LBB0_10:
	s_andn2_saveexec_b32 s5, s5
	s_cbranch_execz .LBB0_36
; %bb.11:
	v_mov_b32_e32 v7, 0
	s_mov_b32 s4, exec_lo
	v_cmpx_gt_i32_e32 3, v9
	s_cbranch_execz .LBB0_15
; %bb.12:
	v_mov_b32_e32 v7, 0
	s_mov_b32 s6, exec_lo
	v_cmpx_ne_u32_e32 2, v9
	s_cbranch_execz .LBB0_14
; %bb.13:
	flat_load_ubyte v7, v[2:3] offset:2
	s_waitcnt vmcnt(0) lgkmcnt(0)
	v_lshlrev_b32_e32 v7, 16, v7
.LBB0_14:
	s_or_b32 exec_lo, exec_lo, s6
	flat_load_ubyte v8, v[2:3] offset:1
	s_waitcnt vmcnt(0) lgkmcnt(0)
	v_lshl_or_b32 v7, v8, 8, v7
.LBB0_15:
	s_or_b32 exec_lo, exec_lo, s4
	flat_load_ubyte v8, v[2:3]
	v_sub_nc_u32_e32 v11, 4, v9
	v_lshlrev_b32_e32 v10, 3, v9
	s_mov_b32 s6, exec_lo
	v_sub_nc_u32_e32 v12, v4, v11
	s_waitcnt vmcnt(0) lgkmcnt(0)
	v_or_b32_e32 v13, v7, v8
	v_add_co_u32 v7, vcc_lo, v2, v11
	v_add_co_ci_u32_e64 v8, null, 0, v3, vcc_lo
	v_lshlrev_b32_e32 v11, 3, v11
	v_lshlrev_b32_e32 v13, v10, v13
	v_cmpx_lt_u32_e32 3, v12
	s_cbranch_execz .LBB0_19
; %bb.16:
	v_add_nc_u32_e32 v12, v4, v9
	s_mov_b32 s7, 0
	.p2align	6
.LBB0_17:                               ; =>This Inner Loop Header: Depth=1
	flat_load_dword v14, v[7:8]
	v_lshrrev_b32_e32 v13, v10, v13
	v_mov_b32_e32 v15, v12
	v_mul_lo_u32 v5, 0x5bd1e995, v5
	v_add_co_u32 v7, vcc_lo, v7, 4
	v_add_co_ci_u32_e64 v8, null, 0, v8, vcc_lo
	v_add_nc_u32_e32 v12, -4, v15
	v_cmp_gt_u32_e64 s4, 8, v12
	s_or_b32 s7, s4, s7
	s_waitcnt vmcnt(0) lgkmcnt(0)
	v_lshl_or_b32 v13, v14, v11, v13
	v_mul_lo_u32 v13, 0x5bd1e995, v13
	v_xor_b32_sdwa v13, v13, v13 dst_sel:DWORD dst_unused:UNUSED_PAD src0_sel:BYTE_3 src1_sel:DWORD
	v_mul_lo_u32 v16, 0x5bd1e995, v13
	v_mov_b32_e32 v13, v14
	v_xor_b32_e32 v5, v16, v5
	s_andn2_b32 exec_lo, exec_lo, s7
	s_cbranch_execnz .LBB0_17
; %bb.18:
	s_or_b32 exec_lo, exec_lo, s7
	v_add_nc_u32_e32 v12, -8, v15
	v_mov_b32_e32 v13, v14
.LBB0_19:
	s_or_b32 exec_lo, exec_lo, s6
	s_mov_b32 s4, exec_lo
	v_cmpx_ge_u32_e64 v12, v9
	s_xor_b32 s4, exec_lo, s4
	s_cbranch_execz .LBB0_29
; %bb.20:
	s_mov_b32 s6, 0
	s_mov_b32 s7, exec_lo
                                        ; implicit-def: $vgpr14
	v_cmpx_lt_i32_e32 2, v9
	s_xor_b32 s7, exec_lo, s7
	s_cbranch_execnz .LBB0_466
; %bb.21:
	s_andn2_saveexec_b32 s7, s7
	s_cbranch_execnz .LBB0_467
.LBB0_22:
	s_or_b32 exec_lo, exec_lo, s7
	v_mov_b32_e32 v15, 0
	s_and_saveexec_b32 s7, s6
	s_cbranch_execz .LBB0_24
.LBB0_23:
	flat_load_ubyte v15, v[7:8] offset:1
	s_waitcnt vmcnt(0) lgkmcnt(0)
	v_lshl_or_b32 v15, v15, 8, v14
.LBB0_24:
	s_or_b32 exec_lo, exec_lo, s7
	flat_load_ubyte v14, v[7:8]
	v_lshrrev_b32_e32 v10, v10, v13
	v_mul_lo_u32 v5, 0x5bd1e995, v5
	s_mov_b32 s6, 0
	s_mov_b32 s7, exec_lo
	s_waitcnt vmcnt(0) lgkmcnt(0)
	v_or_b32_e32 v13, v15, v14
	v_lshl_or_b32 v10, v13, v11, v10
	v_and_b32_e32 v13, 3, v2
	v_mul_lo_u32 v10, 0x5bd1e995, v10
	v_add_co_u32 v7, vcc_lo, v7, v13
	v_add_co_ci_u32_e64 v8, null, 0, v8, vcc_lo
	v_xor_b32_sdwa v10, v10, v10 dst_sel:DWORD dst_unused:UNUSED_PAD src0_sel:BYTE_3 src1_sel:DWORD
	v_mul_lo_u32 v11, 0x5bd1e995, v10
	v_sub_nc_u32_e32 v10, v12, v9
                                        ; implicit-def: $vgpr9
	v_xor_b32_e32 v5, v11, v5
	v_cmpx_lt_i32_e32 1, v10
	s_xor_b32 s7, exec_lo, s7
	s_cbranch_execnz .LBB0_468
; %bb.25:
	s_andn2_saveexec_b32 s7, s7
	s_cbranch_execnz .LBB0_469
.LBB0_26:
	s_or_b32 exec_lo, exec_lo, s7
	s_and_saveexec_b32 s7, s6
	s_cbranch_execz .LBB0_28
.LBB0_27:
	flat_load_ubyte v5, v[7:8]
	s_waitcnt vmcnt(0) lgkmcnt(0)
	v_xor_b32_e32 v5, v9, v5
	v_mul_lo_u32 v5, 0x5bd1e995, v5
.LBB0_28:
	s_or_b32 exec_lo, exec_lo, s7
                                        ; implicit-def: $vgpr12
                                        ; implicit-def: $vgpr10
                                        ; implicit-def: $vgpr13
                                        ; implicit-def: $vgpr11
                                        ; implicit-def: $vgpr7_vgpr8
.LBB0_29:
	s_andn2_saveexec_b32 s4, s4
	s_cbranch_execz .LBB0_35
; %bb.30:
	s_mov_b32 s6, 0
	s_mov_b32 s7, exec_lo
                                        ; implicit-def: $vgpr9
	v_cmpx_lt_i32_e32 1, v12
	s_xor_b32 s7, exec_lo, s7
	s_cbranch_execnz .LBB0_470
; %bb.31:
	s_andn2_saveexec_b32 s7, s7
	s_cbranch_execnz .LBB0_471
.LBB0_32:
	s_or_b32 exec_lo, exec_lo, s7
	s_and_saveexec_b32 s7, s6
	s_cbranch_execz .LBB0_34
.LBB0_33:
	flat_load_ubyte v7, v[7:8]
	s_waitcnt vmcnt(0) lgkmcnt(0)
	v_or_b32_e32 v12, v9, v7
.LBB0_34:
	s_or_b32 exec_lo, exec_lo, s7
	v_lshrrev_b32_e32 v7, v10, v13
	v_lshl_or_b32 v7, v12, v11, v7
	v_xor_b32_e32 v5, v7, v5
	v_mul_lo_u32 v5, 0x5bd1e995, v5
.LBB0_35:
	s_or_b32 exec_lo, exec_lo, s4
.LBB0_36:
	s_or_b32 exec_lo, exec_lo, s5
	v_cvt_f32_u32_e32 v7, v6
	v_lshrrev_b32_e32 v8, 13, v5
	v_sub_nc_u32_e32 v9, 0, v6
	s_getpc_b64 s[6:7]
	s_add_u32 s6, s6, .str.2@rel32@lo+4
	s_addc_u32 s7, s7, .str.2@rel32@hi+12
	v_cmp_lt_i32_e64 s4, 0, v4
	v_rcp_iflag_f32_e32 v7, v7
	v_xor_b32_e32 v5, v8, v5
	v_mbcnt_lo_u32_b32 v37, -1, 0
	v_mov_b32_e32 v10, 1
	v_mov_b32_e32 v11, 33
	s_cmp_lg_u64 s[6:7], 0
	v_mul_lo_u32 v5, 0x5bd1e995, v5
	s_mov_b32 s12, 0
	s_cselect_b32 s24, -1, 0
	s_mov_b32 s6, 0
	v_mul_f32_e32 v7, 0x4f7ffffe, v7
                                        ; implicit-def: $vgpr39
	v_cvt_u32_f32_e32 v7, v7
	v_mul_lo_u32 v8, v9, v7
	v_lshrrev_b32_e32 v9, 15, v5
	v_xor_b32_e32 v5, v9, v5
	v_mov_b32_e32 v9, 2
	v_mul_hi_u32 v8, v7, v8
	v_add_nc_u32_e32 v7, v7, v8
	v_mul_hi_u32 v7, v5, v7
	v_mul_lo_u32 v7, v7, v6
	v_sub_nc_u32_e32 v5, v5, v7
	v_sub_nc_u32_e32 v7, v5, v6
	v_cmp_ge_u32_e32 vcc_lo, v5, v6
	v_cndmask_b32_e32 v7, v5, v7, vcc_lo
	v_mov_b32_e32 v5, -1
	v_sub_nc_u32_e32 v8, v7, v6
	v_cmp_ge_u32_e32 vcc_lo, v7, v6
	v_cndmask_b32_e32 v36, v7, v8, vcc_lo
	v_mov_b32_e32 v8, 0
	v_mov_b32_e32 v7, v36
	s_branch .LBB0_39
.LBB0_37:                               ;   in Loop: Header=BB0_39 Depth=1
	s_mov_b32 s7, -1
                                        ; implicit-def: $sgpr5
                                        ; implicit-def: $vgpr39
                                        ; implicit-def: $vgpr7
.LBB0_38:                               ;   in Loop: Header=BB0_39 Depth=1
	s_andn2_b32 s6, s6, exec_lo
	s_and_b32 s5, s5, exec_lo
	s_and_b32 vcc_lo, exec_lo, s7
	s_or_b32 s6, s6, s5
	s_cbranch_vccnz .LBB0_461
.LBB0_39:                               ; =>This Loop Header: Depth=1
                                        ;     Child Loop BB0_48 Depth 2
                                        ;     Child Loop BB0_60 Depth 2
	;; [unrolled: 1-line block ×10, first 2 shown]
                                        ;       Child Loop BB0_89 Depth 3
                                        ;       Child Loop BB0_96 Depth 3
	;; [unrolled: 1-line block ×11, first 2 shown]
                                        ;     Child Loop BB0_193 Depth 2
                                        ;     Child Loop BB0_201 Depth 2
	;; [unrolled: 1-line block ×9, first 2 shown]
                                        ;       Child Loop BB0_222 Depth 3
                                        ;       Child Loop BB0_229 Depth 3
	;; [unrolled: 1-line block ×11, first 2 shown]
                                        ;     Child Loop BB0_326 Depth 2
                                        ;     Child Loop BB0_334 Depth 2
	;; [unrolled: 1-line block ×9, first 2 shown]
                                        ;       Child Loop BB0_355 Depth 3
                                        ;       Child Loop BB0_362 Depth 3
	;; [unrolled: 1-line block ×11, first 2 shown]
	s_waitcnt vmcnt(0)
	v_cndmask_b32_e64 v12, 0, 1, s6
	v_mov_b32_e32 v38, v7
	v_cmp_ne_u32_e32 vcc_lo, 0, v12
	s_cmp_eq_u32 vcc_lo, exec_lo
	s_cbranch_scc1 .LBB0_37
; %bb.40:                               ;   in Loop: Header=BB0_39 Depth=1
	s_xor_b32 s5, s6, -1
	s_and_saveexec_b32 s6, s5
	s_cbranch_execz .LBB0_44
; %bb.41:                               ;   in Loop: Header=BB0_39 Depth=1
	v_mad_u64_u32 v[12:13], null, v7, 56, v[0:1]
	s_mov_b32 s7, exec_lo
	flat_atomic_cmpswap v39, v[12:13], v[4:5] offset:8 glc
	s_waitcnt vmcnt(0) lgkmcnt(0)
	v_cmpx_eq_u32_e32 -1, v39
	s_cbranch_execz .LBB0_43
; %bb.42:                               ;   in Loop: Header=BB0_39 Depth=1
	s_mov_b32 s15, s12
	s_mov_b32 s13, s12
	;; [unrolled: 1-line block ×3, first 2 shown]
	v_mov_b32_e32 v17, s15
	v_mov_b32_e32 v39, -1
	v_mov_b32_e32 v16, s14
	v_mov_b32_e32 v15, s13
	;; [unrolled: 1-line block ×3, first 2 shown]
	flat_store_dwordx2 v[12:13], v[2:3]
	flat_store_dwordx4 v[12:13], v[14:17] offset:16
	flat_store_dwordx4 v[12:13], v[14:17] offset:32
	;; [unrolled: 1-line block ×3, first 2 shown]
.LBB0_43:                               ;   in Loop: Header=BB0_39 Depth=1
	s_or_b32 exec_lo, exec_lo, s7
.LBB0_44:                               ;   in Loop: Header=BB0_39 Depth=1
	s_or_b32 exec_lo, exec_lo, s6
	v_cmp_ne_u32_e32 vcc_lo, -1, v39
	s_mov_b32 s7, -1
	s_mov_b32 s10, 0
	s_and_b32 s5, s5, vcc_lo
	s_and_saveexec_b32 s6, s5
	s_cbranch_execz .LBB0_54
; %bb.45:                               ;   in Loop: Header=BB0_39 Depth=1
	v_mad_u64_u32 v[12:13], null, v7, 56, v[0:1]
	s_mov_b32 s5, -1
	flat_load_dword v16, v[12:13] offset:8
	s_waitcnt vmcnt(0) lgkmcnt(0)
	v_cmp_ne_u32_e32 vcc_lo, -1, v16
	s_and_b32 s10, vcc_lo, s4
	s_and_saveexec_b32 s7, s10
	s_cbranch_execz .LBB0_51
; %bb.46:                               ;   in Loop: Header=BB0_39 Depth=1
	flat_load_dwordx2 v[12:13], v[12:13]
	v_mov_b32_e32 v15, v3
	v_mov_b32_e32 v14, v2
	;; [unrolled: 1-line block ×3, first 2 shown]
	s_mov_b32 s10, 0
                                        ; implicit-def: $sgpr11
                                        ; implicit-def: $sgpr14
                                        ; implicit-def: $sgpr13
	s_inst_prefetch 0x1
	s_branch .LBB0_48
	.p2align	6
.LBB0_47:                               ;   in Loop: Header=BB0_48 Depth=2
	s_or_b32 exec_lo, exec_lo, s15
	s_xor_b32 s5, s13, -1
	s_and_b32 s15, exec_lo, s14
	s_or_b32 s10, s15, s10
	s_andn2_b32 s11, s11, exec_lo
	s_and_b32 s5, s5, exec_lo
	s_or_b32 s11, s11, s5
	s_andn2_b32 exec_lo, exec_lo, s10
	s_cbranch_execz .LBB0_50
.LBB0_48:                               ;   Parent Loop BB0_39 Depth=1
                                        ; =>  This Inner Loop Header: Depth=2
	s_waitcnt vmcnt(0) lgkmcnt(0)
	flat_load_ubyte v18, v[12:13]
	flat_load_ubyte v19, v[14:15]
	s_or_b32 s13, s13, exec_lo
	s_or_b32 s14, s14, exec_lo
	s_mov_b32 s15, exec_lo
	s_waitcnt vmcnt(0) lgkmcnt(0)
	v_cmpx_eq_u16_e64 v18, v19
	s_cbranch_execz .LBB0_47
; %bb.49:                               ;   in Loop: Header=BB0_48 Depth=2
	v_add_nc_u32_e32 v17, -1, v17
	v_add_co_u32 v14, vcc_lo, v14, 1
	v_add_co_ci_u32_e64 v15, null, 0, v15, vcc_lo
	v_cmp_eq_u32_e32 vcc_lo, 0, v17
	v_add_co_u32 v12, s5, v12, 1
	v_add_co_ci_u32_e64 v13, null, 0, v13, s5
	s_andn2_b32 s5, s14, exec_lo
	s_and_b32 s14, vcc_lo, exec_lo
	s_andn2_b32 s13, s13, exec_lo
	s_or_b32 s14, s5, s14
	s_branch .LBB0_47
.LBB0_50:                               ;   in Loop: Header=BB0_39 Depth=1
	s_inst_prefetch 0x2
	s_or_b32 exec_lo, exec_lo, s10
	s_orn2_b32 s5, s11, exec_lo
.LBB0_51:                               ;   in Loop: Header=BB0_39 Depth=1
	s_or_b32 exec_lo, exec_lo, s7
	s_mov_b32 s7, 0
	s_and_saveexec_b32 s10, s5
; %bb.52:                               ;   in Loop: Header=BB0_39 Depth=1
	v_cmp_eq_u32_e32 vcc_lo, v16, v4
	s_and_b32 s7, vcc_lo, exec_lo
; %bb.53:                               ;   in Loop: Header=BB0_39 Depth=1
	s_or_b32 exec_lo, exec_lo, s10
	s_xor_b32 s5, s7, -1
	s_orn2_b32 s7, s7, exec_lo
	s_and_b32 s10, s5, exec_lo
.LBB0_54:                               ;   in Loop: Header=BB0_39 Depth=1
	s_or_b32 exec_lo, exec_lo, s6
	v_cndmask_b32_e64 v12, 0, 1, s7
	s_mov_b32 s7, -1
                                        ; implicit-def: $sgpr5
	v_cmp_ne_u32_e32 vcc_lo, 0, v12
	s_cmp_eq_u32 vcc_lo, exec_lo
	s_cbranch_scc1 .LBB0_460
; %bb.55:                               ;   in Loop: Header=BB0_39 Depth=1
	s_mov_b32 s5, -1
	s_and_saveexec_b32 s6, s10
	s_xor_b32 s25, exec_lo, s6
	s_cbranch_execz .LBB0_459
; %bb.56:                               ;   in Loop: Header=BB0_39 Depth=1
	v_add_nc_u32_e32 v7, 1, v7
	s_mov_b32 s5, 0
	s_mov_b32 s26, exec_lo
	v_cmp_ne_u32_e32 vcc_lo, v7, v6
	v_cndmask_b32_e32 v7, 0, v7, vcc_lo
	v_cmpx_eq_u32_e64 v7, v36
	s_cbranch_execz .LBB0_458
; %bb.57:                               ;   in Loop: Header=BB0_39 Depth=1
	s_load_dwordx2 s[6:7], s[8:9], 0x50
	v_readfirstlane_b32 s5, v37
	v_mov_b32_e32 v12, 0
	v_mov_b32_e32 v13, 0
	v_cmp_eq_u32_e64 s5, s5, v37
	s_and_saveexec_b32 s10, s5
	s_cbranch_execz .LBB0_63
; %bb.58:                               ;   in Loop: Header=BB0_39 Depth=1
	s_waitcnt lgkmcnt(0)
	global_load_dwordx2 v[14:15], v8, s[6:7] offset:24 glc dlc
	s_waitcnt vmcnt(0)
	buffer_gl1_inv
	buffer_gl0_inv
	s_clause 0x1
	global_load_dwordx2 v[12:13], v8, s[6:7] offset:40
	global_load_dwordx2 v[16:17], v8, s[6:7]
	s_mov_b32 s11, exec_lo
	s_waitcnt vmcnt(1)
	v_and_b32_e32 v7, v13, v15
	v_and_b32_e32 v12, v12, v14
	v_mul_lo_u32 v7, v7, 24
	v_mul_hi_u32 v13, v12, 24
	v_mul_lo_u32 v12, v12, 24
	v_add_nc_u32_e32 v7, v13, v7
	s_waitcnt vmcnt(0)
	v_add_co_u32 v12, vcc_lo, v16, v12
	v_add_co_ci_u32_e64 v13, null, v17, v7, vcc_lo
	global_load_dwordx2 v[12:13], v[12:13], off glc dlc
	s_waitcnt vmcnt(0)
	global_atomic_cmpswap_x2 v[12:13], v8, v[12:15], s[6:7] offset:24 glc
	s_waitcnt vmcnt(0)
	buffer_gl1_inv
	buffer_gl0_inv
	v_cmpx_ne_u64_e64 v[12:13], v[14:15]
	s_cbranch_execz .LBB0_62
; %bb.59:                               ;   in Loop: Header=BB0_39 Depth=1
	s_mov_b32 s13, 0
	.p2align	6
.LBB0_60:                               ;   Parent Loop BB0_39 Depth=1
                                        ; =>  This Inner Loop Header: Depth=2
	s_sleep 1
	s_clause 0x1
	global_load_dwordx2 v[16:17], v8, s[6:7] offset:40
	global_load_dwordx2 v[18:19], v8, s[6:7]
	v_mov_b32_e32 v15, v13
	v_mov_b32_e32 v14, v12
	s_waitcnt vmcnt(1)
	v_and_b32_e32 v7, v16, v14
	v_and_b32_e32 v16, v17, v15
	s_waitcnt vmcnt(0)
	v_mad_u64_u32 v[12:13], null, v7, 24, v[18:19]
	v_mov_b32_e32 v7, v13
	v_mad_u64_u32 v[16:17], null, v16, 24, v[7:8]
	v_mov_b32_e32 v13, v16
	global_load_dwordx2 v[12:13], v[12:13], off glc dlc
	s_waitcnt vmcnt(0)
	global_atomic_cmpswap_x2 v[12:13], v8, v[12:15], s[6:7] offset:24 glc
	s_waitcnt vmcnt(0)
	buffer_gl1_inv
	buffer_gl0_inv
	v_cmp_eq_u64_e32 vcc_lo, v[12:13], v[14:15]
	s_or_b32 s13, vcc_lo, s13
	s_andn2_b32 exec_lo, exec_lo, s13
	s_cbranch_execnz .LBB0_60
; %bb.61:                               ;   in Loop: Header=BB0_39 Depth=1
	s_or_b32 exec_lo, exec_lo, s13
.LBB0_62:                               ;   in Loop: Header=BB0_39 Depth=1
	s_or_b32 exec_lo, exec_lo, s11
.LBB0_63:                               ;   in Loop: Header=BB0_39 Depth=1
	s_or_b32 exec_lo, exec_lo, s10
	s_waitcnt lgkmcnt(0)
	s_clause 0x1
	global_load_dwordx2 v[19:20], v8, s[6:7] offset:40
	global_load_dwordx4 v[15:18], v8, s[6:7]
	v_readfirstlane_b32 s11, v13
	v_readfirstlane_b32 s10, v12
	s_mov_b32 s13, exec_lo
	s_waitcnt vmcnt(1)
	v_readfirstlane_b32 s14, v19
	v_readfirstlane_b32 s15, v20
	s_and_b64 s[14:15], s[14:15], s[10:11]
	s_mul_i32 s16, s15, 24
	s_mul_hi_u32 s17, s14, 24
	s_mul_i32 s18, s14, 24
	s_add_i32 s17, s17, s16
	s_waitcnt vmcnt(0)
	v_add_co_u32 v19, vcc_lo, v15, s18
	v_add_co_ci_u32_e64 v20, null, s17, v16, vcc_lo
	s_and_saveexec_b32 s16, s5
	s_cbranch_execz .LBB0_65
; %bb.64:                               ;   in Loop: Header=BB0_39 Depth=1
	v_mov_b32_e32 v7, s13
	global_store_dwordx4 v[19:20], v[7:10], off offset:8
.LBB0_65:                               ;   in Loop: Header=BB0_39 Depth=1
	s_or_b32 exec_lo, exec_lo, s16
	s_lshl_b64 s[14:15], s[14:15], 12
	s_mov_b32 s13, s12
	v_add_co_u32 v21, vcc_lo, v17, s14
	v_add_co_ci_u32_e64 v22, null, s15, v18, vcc_lo
	s_mov_b32 s15, s12
	s_mov_b32 s14, s12
	v_lshlrev_b32_e32 v48, 6, v37
	v_mov_b32_e32 v12, v8
	v_mov_b32_e32 v13, v8
	v_mov_b32_e32 v14, v8
	v_readfirstlane_b32 s16, v21
	v_readfirstlane_b32 s17, v22
	v_mov_b32_e32 v26, s15
	v_mov_b32_e32 v25, s14
	;; [unrolled: 1-line block ×4, first 2 shown]
	global_store_dwordx4 v48, v[11:14], s[16:17]
	global_store_dwordx4 v48, v[23:26], s[16:17] offset:16
	global_store_dwordx4 v48, v[23:26], s[16:17] offset:32
	;; [unrolled: 1-line block ×3, first 2 shown]
	s_and_saveexec_b32 s13, s5
	s_cbranch_execz .LBB0_73
; %bb.66:                               ;   in Loop: Header=BB0_39 Depth=1
	s_clause 0x1
	global_load_dwordx2 v[25:26], v8, s[6:7] offset:32 glc dlc
	global_load_dwordx2 v[12:13], v8, s[6:7] offset:40
	v_mov_b32_e32 v23, s10
	v_mov_b32_e32 v24, s11
	s_mov_b32 s14, exec_lo
	s_waitcnt vmcnt(0)
	v_and_b32_e32 v7, s11, v13
	v_and_b32_e32 v12, s10, v12
	v_mul_lo_u32 v7, v7, 24
	v_mul_hi_u32 v13, v12, 24
	v_mul_lo_u32 v12, v12, 24
	v_add_nc_u32_e32 v7, v13, v7
	v_add_co_u32 v17, vcc_lo, v15, v12
	v_add_co_ci_u32_e64 v18, null, v16, v7, vcc_lo
	global_store_dwordx2 v[17:18], v[25:26], off
	s_waitcnt_vscnt null, 0x0
	global_atomic_cmpswap_x2 v[14:15], v8, v[23:26], s[6:7] offset:32 glc
	s_waitcnt vmcnt(0)
	v_cmpx_ne_u64_e64 v[14:15], v[25:26]
	s_cbranch_execz .LBB0_69
; %bb.67:                               ;   in Loop: Header=BB0_39 Depth=1
	s_mov_b32 s15, 0
.LBB0_68:                               ;   Parent Loop BB0_39 Depth=1
                                        ; =>  This Inner Loop Header: Depth=2
	v_mov_b32_e32 v12, s10
	v_mov_b32_e32 v13, s11
	s_sleep 1
	global_store_dwordx2 v[17:18], v[14:15], off
	s_waitcnt_vscnt null, 0x0
	global_atomic_cmpswap_x2 v[12:13], v8, v[12:15], s[6:7] offset:32 glc
	s_waitcnt vmcnt(0)
	v_cmp_eq_u64_e32 vcc_lo, v[12:13], v[14:15]
	v_mov_b32_e32 v15, v13
	v_mov_b32_e32 v14, v12
	s_or_b32 s15, vcc_lo, s15
	s_andn2_b32 exec_lo, exec_lo, s15
	s_cbranch_execnz .LBB0_68
.LBB0_69:                               ;   in Loop: Header=BB0_39 Depth=1
	s_or_b32 exec_lo, exec_lo, s14
	global_load_dwordx2 v[12:13], v8, s[6:7] offset:16
	s_mov_b32 s15, exec_lo
	s_mov_b32 s14, exec_lo
	v_mbcnt_lo_u32_b32 v7, s15, 0
	v_cmpx_eq_u32_e32 0, v7
	s_cbranch_execz .LBB0_71
; %bb.70:                               ;   in Loop: Header=BB0_39 Depth=1
	s_bcnt1_i32_b32 s15, s15
	v_mov_b32_e32 v7, s15
	s_waitcnt vmcnt(0)
	global_atomic_add_x2 v[12:13], v[7:8], off offset:8
.LBB0_71:                               ;   in Loop: Header=BB0_39 Depth=1
	s_or_b32 exec_lo, exec_lo, s14
	s_waitcnt vmcnt(0)
	global_load_dwordx2 v[14:15], v[12:13], off offset:16
	s_waitcnt vmcnt(0)
	v_cmp_eq_u64_e32 vcc_lo, 0, v[14:15]
	s_cbranch_vccnz .LBB0_73
; %bb.72:                               ;   in Loop: Header=BB0_39 Depth=1
	global_load_dword v7, v[12:13], off offset:24
	s_waitcnt vmcnt(0)
	v_readfirstlane_b32 s14, v7
	s_waitcnt_vscnt null, 0x0
	global_store_dwordx2 v[14:15], v[7:8], off
	s_and_b32 m0, s14, 0x7fffff
	s_sendmsg sendmsg(MSG_INTERRUPT)
.LBB0_73:                               ;   in Loop: Header=BB0_39 Depth=1
	s_or_b32 exec_lo, exec_lo, s13
	v_add_co_u32 v12, vcc_lo, v21, v48
	v_add_co_ci_u32_e64 v13, null, 0, v22, vcc_lo
	s_branch .LBB0_77
	.p2align	6
.LBB0_74:                               ;   in Loop: Header=BB0_77 Depth=2
	s_or_b32 exec_lo, exec_lo, s13
	v_readfirstlane_b32 s13, v7
	s_cmp_eq_u32 s13, 0
	s_cbranch_scc1 .LBB0_76
; %bb.75:                               ;   in Loop: Header=BB0_77 Depth=2
	s_sleep 1
	s_cbranch_execnz .LBB0_77
	s_branch .LBB0_79
	.p2align	6
.LBB0_76:                               ;   in Loop: Header=BB0_39 Depth=1
	s_branch .LBB0_79
.LBB0_77:                               ;   Parent Loop BB0_39 Depth=1
                                        ; =>  This Inner Loop Header: Depth=2
	v_mov_b32_e32 v7, 1
	s_and_saveexec_b32 s13, s5
	s_cbranch_execz .LBB0_74
; %bb.78:                               ;   in Loop: Header=BB0_77 Depth=2
	global_load_dword v7, v[19:20], off offset:20 glc dlc
	s_waitcnt vmcnt(0)
	buffer_gl1_inv
	buffer_gl0_inv
	v_and_b32_e32 v7, 1, v7
	s_branch .LBB0_74
.LBB0_79:                               ;   in Loop: Header=BB0_39 Depth=1
	global_load_dwordx2 v[12:13], v[12:13], off
	s_and_saveexec_b32 s13, s5
	s_cbranch_execz .LBB0_83
; %bb.80:                               ;   in Loop: Header=BB0_39 Depth=1
	s_clause 0x2
	global_load_dwordx2 v[14:15], v8, s[6:7] offset:40
	global_load_dwordx2 v[22:23], v8, s[6:7] offset:24 glc dlc
	global_load_dwordx2 v[16:17], v8, s[6:7]
	s_waitcnt vmcnt(2)
	v_readfirstlane_b32 s14, v14
	v_readfirstlane_b32 s15, v15
	s_add_u32 s5, s14, 1
	s_addc_u32 s16, s15, 0
	s_add_u32 s10, s5, s10
	s_addc_u32 s11, s16, s11
	s_cmp_eq_u64 s[10:11], 0
	s_cselect_b32 s11, s16, s11
	s_cselect_b32 s10, s5, s10
	v_mov_b32_e32 v21, s11
	s_and_b64 s[14:15], s[10:11], s[14:15]
	v_mov_b32_e32 v20, s10
	s_mul_i32 s5, s15, 24
	s_mul_hi_u32 s15, s14, 24
	s_mul_i32 s14, s14, 24
	s_add_i32 s15, s15, s5
	s_waitcnt vmcnt(0)
	v_add_co_u32 v18, vcc_lo, v16, s14
	v_add_co_ci_u32_e64 v19, null, s15, v17, vcc_lo
	global_store_dwordx2 v[18:19], v[22:23], off
	s_waitcnt_vscnt null, 0x0
	global_atomic_cmpswap_x2 v[16:17], v8, v[20:23], s[6:7] offset:24 glc
	s_waitcnt vmcnt(0)
	v_cmp_ne_u64_e32 vcc_lo, v[16:17], v[22:23]
	s_and_b32 exec_lo, exec_lo, vcc_lo
	s_cbranch_execz .LBB0_83
; %bb.81:                               ;   in Loop: Header=BB0_39 Depth=1
	s_mov_b32 s5, 0
.LBB0_82:                               ;   Parent Loop BB0_39 Depth=1
                                        ; =>  This Inner Loop Header: Depth=2
	v_mov_b32_e32 v14, s10
	v_mov_b32_e32 v15, s11
	s_sleep 1
	global_store_dwordx2 v[18:19], v[16:17], off
	s_waitcnt_vscnt null, 0x0
	global_atomic_cmpswap_x2 v[14:15], v8, v[14:17], s[6:7] offset:24 glc
	s_waitcnt vmcnt(0)
	v_cmp_eq_u64_e32 vcc_lo, v[14:15], v[16:17]
	v_mov_b32_e32 v17, v15
	v_mov_b32_e32 v16, v14
	s_or_b32 s5, vcc_lo, s5
	s_andn2_b32 exec_lo, exec_lo, s5
	s_cbranch_execnz .LBB0_82
.LBB0_83:                               ;   in Loop: Header=BB0_39 Depth=1
	s_or_b32 exec_lo, exec_lo, s13
	s_and_b32 vcc_lo, exec_lo, s24
	s_cbranch_vccz .LBB0_162
; %bb.84:                               ;   in Loop: Header=BB0_39 Depth=1
	s_waitcnt vmcnt(0)
	v_and_b32_e32 v14, -3, v12
	v_mov_b32_e32 v15, v13
	s_mov_b64 s[14:15], 39
	s_getpc_b64 s[10:11]
	s_add_u32 s10, s10, .str.2@rel32@lo+4
	s_addc_u32 s11, s11, .str.2@rel32@hi+12
	s_branch .LBB0_86
.LBB0_85:                               ;   in Loop: Header=BB0_86 Depth=2
	s_or_b32 exec_lo, exec_lo, s13
	s_sub_u32 s14, s14, s16
	s_subb_u32 s15, s15, s17
	s_add_u32 s10, s10, s16
	s_addc_u32 s11, s11, s17
	s_cmp_lg_u64 s[14:15], 0
	s_cbranch_scc0 .LBB0_161
.LBB0_86:                               ;   Parent Loop BB0_39 Depth=1
                                        ; =>  This Loop Header: Depth=2
                                        ;       Child Loop BB0_89 Depth 3
                                        ;       Child Loop BB0_96 Depth 3
	;; [unrolled: 1-line block ×11, first 2 shown]
	v_cmp_lt_u64_e64 s5, s[14:15], 56
	v_cmp_gt_u64_e64 s13, s[14:15], 7
	s_and_b32 s5, s5, exec_lo
	s_cselect_b32 s17, s15, 0
	s_cselect_b32 s16, s14, 56
	s_add_u32 s18, s10, 8
	s_addc_u32 s19, s11, 0
	s_and_b32 vcc_lo, exec_lo, s13
	s_cbranch_vccnz .LBB0_91
; %bb.87:                               ;   in Loop: Header=BB0_86 Depth=2
	s_waitcnt vmcnt(0)
	v_mov_b32_e32 v16, 0
	v_mov_b32_e32 v17, 0
	s_cmp_eq_u64 s[14:15], 0
	s_cbranch_scc1 .LBB0_90
; %bb.88:                               ;   in Loop: Header=BB0_86 Depth=2
	s_lshl_b64 s[18:19], s[16:17], 3
	s_mov_b64 s[20:21], 0
	s_mov_b64 s[22:23], s[10:11]
.LBB0_89:                               ;   Parent Loop BB0_39 Depth=1
                                        ;     Parent Loop BB0_86 Depth=2
                                        ; =>    This Inner Loop Header: Depth=3
	global_load_ubyte v7, v8, s[22:23]
	s_waitcnt vmcnt(0)
	v_and_b32_e32 v7, 0xffff, v7
	v_lshlrev_b64 v[18:19], s20, v[7:8]
	s_add_u32 s20, s20, 8
	s_addc_u32 s21, s21, 0
	s_add_u32 s22, s22, 1
	s_addc_u32 s23, s23, 0
	s_cmp_lg_u32 s18, s20
	v_or_b32_e32 v16, v18, v16
	v_or_b32_e32 v17, v19, v17
	s_cbranch_scc1 .LBB0_89
.LBB0_90:                               ;   in Loop: Header=BB0_86 Depth=2
	s_mov_b64 s[18:19], s[10:11]
	s_mov_b32 s5, 0
	s_cbranch_execz .LBB0_92
	s_branch .LBB0_93
.LBB0_91:                               ;   in Loop: Header=BB0_86 Depth=2
	s_mov_b32 s5, 0
.LBB0_92:                               ;   in Loop: Header=BB0_86 Depth=2
	global_load_dwordx2 v[16:17], v8, s[10:11]
	s_add_i32 s5, s16, -8
.LBB0_93:                               ;   in Loop: Header=BB0_86 Depth=2
	s_add_u32 s20, s18, 8
	s_addc_u32 s21, s19, 0
	s_cmp_gt_u32 s5, 7
	s_cbranch_scc1 .LBB0_98
; %bb.94:                               ;   in Loop: Header=BB0_86 Depth=2
	v_mov_b32_e32 v18, 0
	v_mov_b32_e32 v19, 0
	s_cmp_eq_u32 s5, 0
	s_cbranch_scc1 .LBB0_97
; %bb.95:                               ;   in Loop: Header=BB0_86 Depth=2
	s_mov_b64 s[20:21], 0
	s_mov_b64 s[22:23], 0
.LBB0_96:                               ;   Parent Loop BB0_39 Depth=1
                                        ;     Parent Loop BB0_86 Depth=2
                                        ; =>    This Inner Loop Header: Depth=3
	s_add_u32 s28, s18, s22
	s_addc_u32 s29, s19, s23
	s_add_u32 s22, s22, 1
	global_load_ubyte v7, v8, s[28:29]
	s_addc_u32 s23, s23, 0
	s_waitcnt vmcnt(0)
	v_and_b32_e32 v7, 0xffff, v7
	v_lshlrev_b64 v[20:21], s20, v[7:8]
	s_add_u32 s20, s20, 8
	s_addc_u32 s21, s21, 0
	s_cmp_lg_u32 s5, s22
	v_or_b32_e32 v18, v20, v18
	v_or_b32_e32 v19, v21, v19
	s_cbranch_scc1 .LBB0_96
.LBB0_97:                               ;   in Loop: Header=BB0_86 Depth=2
	s_mov_b64 s[20:21], s[18:19]
	s_mov_b32 s13, 0
	s_cbranch_execz .LBB0_99
	s_branch .LBB0_100
.LBB0_98:                               ;   in Loop: Header=BB0_86 Depth=2
                                        ; implicit-def: $vgpr18_vgpr19
	s_mov_b32 s13, 0
.LBB0_99:                               ;   in Loop: Header=BB0_86 Depth=2
	global_load_dwordx2 v[18:19], v8, s[18:19]
	s_add_i32 s13, s5, -8
.LBB0_100:                              ;   in Loop: Header=BB0_86 Depth=2
	s_add_u32 s18, s20, 8
	s_addc_u32 s19, s21, 0
	s_cmp_gt_u32 s13, 7
	s_cbranch_scc1 .LBB0_105
; %bb.101:                              ;   in Loop: Header=BB0_86 Depth=2
	v_mov_b32_e32 v20, 0
	v_mov_b32_e32 v21, 0
	s_cmp_eq_u32 s13, 0
	s_cbranch_scc1 .LBB0_104
; %bb.102:                              ;   in Loop: Header=BB0_86 Depth=2
	s_mov_b64 s[18:19], 0
	s_mov_b64 s[22:23], 0
.LBB0_103:                              ;   Parent Loop BB0_39 Depth=1
                                        ;     Parent Loop BB0_86 Depth=2
                                        ; =>    This Inner Loop Header: Depth=3
	s_add_u32 s28, s20, s22
	s_addc_u32 s29, s21, s23
	s_add_u32 s22, s22, 1
	global_load_ubyte v7, v8, s[28:29]
	s_addc_u32 s23, s23, 0
	s_waitcnt vmcnt(0)
	v_and_b32_e32 v7, 0xffff, v7
	v_lshlrev_b64 v[22:23], s18, v[7:8]
	s_add_u32 s18, s18, 8
	s_addc_u32 s19, s19, 0
	s_cmp_lg_u32 s13, s22
	v_or_b32_e32 v20, v22, v20
	v_or_b32_e32 v21, v23, v21
	s_cbranch_scc1 .LBB0_103
.LBB0_104:                              ;   in Loop: Header=BB0_86 Depth=2
	s_mov_b64 s[18:19], s[20:21]
	s_mov_b32 s5, 0
	s_cbranch_execz .LBB0_106
	s_branch .LBB0_107
.LBB0_105:                              ;   in Loop: Header=BB0_86 Depth=2
	s_mov_b32 s5, 0
.LBB0_106:                              ;   in Loop: Header=BB0_86 Depth=2
	global_load_dwordx2 v[20:21], v8, s[20:21]
	s_add_i32 s5, s13, -8
.LBB0_107:                              ;   in Loop: Header=BB0_86 Depth=2
	s_add_u32 s20, s18, 8
	s_addc_u32 s21, s19, 0
	s_cmp_gt_u32 s5, 7
	s_cbranch_scc1 .LBB0_112
; %bb.108:                              ;   in Loop: Header=BB0_86 Depth=2
	v_mov_b32_e32 v22, 0
	v_mov_b32_e32 v23, 0
	s_cmp_eq_u32 s5, 0
	s_cbranch_scc1 .LBB0_111
; %bb.109:                              ;   in Loop: Header=BB0_86 Depth=2
	s_mov_b64 s[20:21], 0
	s_mov_b64 s[22:23], 0
.LBB0_110:                              ;   Parent Loop BB0_39 Depth=1
                                        ;     Parent Loop BB0_86 Depth=2
                                        ; =>    This Inner Loop Header: Depth=3
	s_add_u32 s28, s18, s22
	s_addc_u32 s29, s19, s23
	s_add_u32 s22, s22, 1
	global_load_ubyte v7, v8, s[28:29]
	s_addc_u32 s23, s23, 0
	s_waitcnt vmcnt(0)
	v_and_b32_e32 v7, 0xffff, v7
	v_lshlrev_b64 v[24:25], s20, v[7:8]
	s_add_u32 s20, s20, 8
	s_addc_u32 s21, s21, 0
	s_cmp_lg_u32 s5, s22
	v_or_b32_e32 v22, v24, v22
	v_or_b32_e32 v23, v25, v23
	s_cbranch_scc1 .LBB0_110
.LBB0_111:                              ;   in Loop: Header=BB0_86 Depth=2
	s_mov_b64 s[20:21], s[18:19]
	s_mov_b32 s13, 0
	s_cbranch_execz .LBB0_113
	s_branch .LBB0_114
.LBB0_112:                              ;   in Loop: Header=BB0_86 Depth=2
                                        ; implicit-def: $vgpr22_vgpr23
	s_mov_b32 s13, 0
.LBB0_113:                              ;   in Loop: Header=BB0_86 Depth=2
	global_load_dwordx2 v[22:23], v8, s[18:19]
	s_add_i32 s13, s5, -8
.LBB0_114:                              ;   in Loop: Header=BB0_86 Depth=2
	s_add_u32 s18, s20, 8
	s_addc_u32 s19, s21, 0
	s_cmp_gt_u32 s13, 7
	s_cbranch_scc1 .LBB0_119
; %bb.115:                              ;   in Loop: Header=BB0_86 Depth=2
	v_mov_b32_e32 v24, 0
	v_mov_b32_e32 v25, 0
	s_cmp_eq_u32 s13, 0
	s_cbranch_scc1 .LBB0_118
; %bb.116:                              ;   in Loop: Header=BB0_86 Depth=2
	s_mov_b64 s[18:19], 0
	s_mov_b64 s[22:23], 0
.LBB0_117:                              ;   Parent Loop BB0_39 Depth=1
                                        ;     Parent Loop BB0_86 Depth=2
                                        ; =>    This Inner Loop Header: Depth=3
	s_add_u32 s28, s20, s22
	s_addc_u32 s29, s21, s23
	s_add_u32 s22, s22, 1
	global_load_ubyte v7, v8, s[28:29]
	s_addc_u32 s23, s23, 0
	s_waitcnt vmcnt(0)
	v_and_b32_e32 v7, 0xffff, v7
	v_lshlrev_b64 v[26:27], s18, v[7:8]
	s_add_u32 s18, s18, 8
	s_addc_u32 s19, s19, 0
	s_cmp_lg_u32 s13, s22
	v_or_b32_e32 v24, v26, v24
	v_or_b32_e32 v25, v27, v25
	s_cbranch_scc1 .LBB0_117
.LBB0_118:                              ;   in Loop: Header=BB0_86 Depth=2
	s_mov_b64 s[18:19], s[20:21]
	s_mov_b32 s5, 0
	s_cbranch_execz .LBB0_120
	s_branch .LBB0_121
.LBB0_119:                              ;   in Loop: Header=BB0_86 Depth=2
	s_mov_b32 s5, 0
.LBB0_120:                              ;   in Loop: Header=BB0_86 Depth=2
	global_load_dwordx2 v[24:25], v8, s[20:21]
	s_add_i32 s5, s13, -8
.LBB0_121:                              ;   in Loop: Header=BB0_86 Depth=2
	s_add_u32 s20, s18, 8
	s_addc_u32 s21, s19, 0
	s_cmp_gt_u32 s5, 7
	s_cbranch_scc1 .LBB0_126
; %bb.122:                              ;   in Loop: Header=BB0_86 Depth=2
	v_mov_b32_e32 v26, 0
	v_mov_b32_e32 v27, 0
	s_cmp_eq_u32 s5, 0
	s_cbranch_scc1 .LBB0_125
; %bb.123:                              ;   in Loop: Header=BB0_86 Depth=2
	s_mov_b64 s[20:21], 0
	s_mov_b64 s[22:23], 0
.LBB0_124:                              ;   Parent Loop BB0_39 Depth=1
                                        ;     Parent Loop BB0_86 Depth=2
                                        ; =>    This Inner Loop Header: Depth=3
	s_add_u32 s28, s18, s22
	s_addc_u32 s29, s19, s23
	s_add_u32 s22, s22, 1
	global_load_ubyte v7, v8, s[28:29]
	s_addc_u32 s23, s23, 0
	s_waitcnt vmcnt(0)
	v_and_b32_e32 v7, 0xffff, v7
	v_lshlrev_b64 v[28:29], s20, v[7:8]
	s_add_u32 s20, s20, 8
	s_addc_u32 s21, s21, 0
	s_cmp_lg_u32 s5, s22
	v_or_b32_e32 v26, v28, v26
	v_or_b32_e32 v27, v29, v27
	s_cbranch_scc1 .LBB0_124
.LBB0_125:                              ;   in Loop: Header=BB0_86 Depth=2
	s_mov_b64 s[20:21], s[18:19]
	s_mov_b32 s13, 0
	s_cbranch_execz .LBB0_127
	s_branch .LBB0_128
.LBB0_126:                              ;   in Loop: Header=BB0_86 Depth=2
                                        ; implicit-def: $vgpr26_vgpr27
	s_mov_b32 s13, 0
.LBB0_127:                              ;   in Loop: Header=BB0_86 Depth=2
	global_load_dwordx2 v[26:27], v8, s[18:19]
	s_add_i32 s13, s5, -8
.LBB0_128:                              ;   in Loop: Header=BB0_86 Depth=2
	s_cmp_gt_u32 s13, 7
	s_cbranch_scc1 .LBB0_133
; %bb.129:                              ;   in Loop: Header=BB0_86 Depth=2
	v_mov_b32_e32 v28, 0
	v_mov_b32_e32 v29, 0
	s_cmp_eq_u32 s13, 0
	s_cbranch_scc1 .LBB0_132
; %bb.130:                              ;   in Loop: Header=BB0_86 Depth=2
	s_mov_b64 s[18:19], 0
	s_mov_b64 s[22:23], s[20:21]
.LBB0_131:                              ;   Parent Loop BB0_39 Depth=1
                                        ;     Parent Loop BB0_86 Depth=2
                                        ; =>    This Inner Loop Header: Depth=3
	global_load_ubyte v7, v8, s[22:23]
	s_add_i32 s13, s13, -1
	s_waitcnt vmcnt(0)
	v_and_b32_e32 v7, 0xffff, v7
	v_lshlrev_b64 v[30:31], s18, v[7:8]
	s_add_u32 s18, s18, 8
	s_addc_u32 s19, s19, 0
	s_add_u32 s22, s22, 1
	s_addc_u32 s23, s23, 0
	s_cmp_lg_u32 s13, 0
	v_or_b32_e32 v28, v30, v28
	v_or_b32_e32 v29, v31, v29
	s_cbranch_scc1 .LBB0_131
.LBB0_132:                              ;   in Loop: Header=BB0_86 Depth=2
	s_cbranch_execz .LBB0_134
	s_branch .LBB0_135
.LBB0_133:                              ;   in Loop: Header=BB0_86 Depth=2
.LBB0_134:                              ;   in Loop: Header=BB0_86 Depth=2
	global_load_dwordx2 v[28:29], v8, s[20:21]
.LBB0_135:                              ;   in Loop: Header=BB0_86 Depth=2
	v_readfirstlane_b32 s5, v37
	v_mov_b32_e32 v34, 0
	v_mov_b32_e32 v35, 0
	v_cmp_eq_u32_e64 s5, s5, v37
	s_and_saveexec_b32 s13, s5
	s_cbranch_execz .LBB0_141
; %bb.136:                              ;   in Loop: Header=BB0_86 Depth=2
	global_load_dwordx2 v[32:33], v8, s[6:7] offset:24 glc dlc
	s_waitcnt vmcnt(0)
	buffer_gl1_inv
	buffer_gl0_inv
	s_clause 0x1
	global_load_dwordx2 v[30:31], v8, s[6:7] offset:40
	global_load_dwordx2 v[34:35], v8, s[6:7]
	s_mov_b32 s18, exec_lo
	s_waitcnt vmcnt(1)
	v_and_b32_e32 v7, v31, v33
	v_and_b32_e32 v30, v30, v32
	v_mul_lo_u32 v7, v7, 24
	v_mul_hi_u32 v31, v30, 24
	v_mul_lo_u32 v30, v30, 24
	v_add_nc_u32_e32 v7, v31, v7
	s_waitcnt vmcnt(0)
	v_add_co_u32 v30, vcc_lo, v34, v30
	v_add_co_ci_u32_e64 v31, null, v35, v7, vcc_lo
	global_load_dwordx2 v[30:31], v[30:31], off glc dlc
	s_waitcnt vmcnt(0)
	global_atomic_cmpswap_x2 v[34:35], v8, v[30:33], s[6:7] offset:24 glc
	s_waitcnt vmcnt(0)
	buffer_gl1_inv
	buffer_gl0_inv
	v_cmpx_ne_u64_e64 v[34:35], v[32:33]
	s_cbranch_execz .LBB0_140
; %bb.137:                              ;   in Loop: Header=BB0_86 Depth=2
	s_mov_b32 s19, 0
	.p2align	6
.LBB0_138:                              ;   Parent Loop BB0_39 Depth=1
                                        ;     Parent Loop BB0_86 Depth=2
                                        ; =>    This Inner Loop Header: Depth=3
	s_sleep 1
	s_clause 0x1
	global_load_dwordx2 v[30:31], v8, s[6:7] offset:40
	global_load_dwordx2 v[49:50], v8, s[6:7]
	v_mov_b32_e32 v32, v34
	v_mov_b32_e32 v33, v35
	s_waitcnt vmcnt(1)
	v_and_b32_e32 v7, v30, v32
	v_and_b32_e32 v30, v31, v33
	s_waitcnt vmcnt(0)
	v_mad_u64_u32 v[34:35], null, v7, 24, v[49:50]
	v_mov_b32_e32 v7, v35
	v_mad_u64_u32 v[30:31], null, v30, 24, v[7:8]
	v_mov_b32_e32 v35, v30
	global_load_dwordx2 v[30:31], v[34:35], off glc dlc
	s_waitcnt vmcnt(0)
	global_atomic_cmpswap_x2 v[34:35], v8, v[30:33], s[6:7] offset:24 glc
	s_waitcnt vmcnt(0)
	buffer_gl1_inv
	buffer_gl0_inv
	v_cmp_eq_u64_e32 vcc_lo, v[34:35], v[32:33]
	s_or_b32 s19, vcc_lo, s19
	s_andn2_b32 exec_lo, exec_lo, s19
	s_cbranch_execnz .LBB0_138
; %bb.139:                              ;   in Loop: Header=BB0_86 Depth=2
	s_or_b32 exec_lo, exec_lo, s19
.LBB0_140:                              ;   in Loop: Header=BB0_86 Depth=2
	s_or_b32 exec_lo, exec_lo, s18
.LBB0_141:                              ;   in Loop: Header=BB0_86 Depth=2
	s_or_b32 exec_lo, exec_lo, s13
	s_clause 0x1
	global_load_dwordx2 v[49:50], v8, s[6:7] offset:40
	global_load_dwordx4 v[30:33], v8, s[6:7]
	v_readfirstlane_b32 s19, v35
	v_readfirstlane_b32 s18, v34
	s_mov_b32 s13, exec_lo
	s_waitcnt vmcnt(1)
	v_readfirstlane_b32 s20, v49
	v_readfirstlane_b32 s21, v50
	s_and_b64 s[20:21], s[20:21], s[18:19]
	s_mul_i32 s22, s21, 24
	s_mul_hi_u32 s23, s20, 24
	s_mul_i32 s27, s20, 24
	s_add_i32 s23, s23, s22
	s_waitcnt vmcnt(0)
	v_add_co_u32 v34, vcc_lo, v30, s27
	v_add_co_ci_u32_e64 v35, null, s23, v31, vcc_lo
	s_and_saveexec_b32 s22, s5
	s_cbranch_execz .LBB0_143
; %bb.142:                              ;   in Loop: Header=BB0_86 Depth=2
	v_mov_b32_e32 v7, s13
	global_store_dwordx4 v[34:35], v[7:10], off offset:8
.LBB0_143:                              ;   in Loop: Header=BB0_86 Depth=2
	s_or_b32 exec_lo, exec_lo, s22
	v_cmp_gt_u64_e64 s13, s[14:15], 56
	s_lshl_b64 s[20:21], s[20:21], 12
	v_and_b32_e32 v7, 0xffffff1f, v14
	v_add_co_u32 v32, vcc_lo, v32, s20
	v_add_co_ci_u32_e64 v33, null, s21, v33, vcc_lo
	s_and_b32 s13, s13, exec_lo
	s_cselect_b32 s13, 0, 2
	s_lshl_b32 s22, s16, 2
	v_or_b32_e32 v7, s13, v7
	v_readfirstlane_b32 s20, v32
	v_readfirstlane_b32 s21, v33
	s_add_i32 s22, s22, 28
	v_and_or_b32 v14, 0x1e0, s22, v7
	global_store_dwordx4 v48, v[18:21], s[20:21] offset:16
	global_store_dwordx4 v48, v[22:25], s[20:21] offset:32
	global_store_dwordx4 v48, v[14:17], s[20:21]
	global_store_dwordx4 v48, v[26:29], s[20:21] offset:48
	s_and_saveexec_b32 s13, s5
	s_cbranch_execz .LBB0_151
; %bb.144:                              ;   in Loop: Header=BB0_86 Depth=2
	s_clause 0x1
	global_load_dwordx2 v[22:23], v8, s[6:7] offset:32 glc dlc
	global_load_dwordx2 v[14:15], v8, s[6:7] offset:40
	v_mov_b32_e32 v20, s18
	v_mov_b32_e32 v21, s19
	s_waitcnt vmcnt(0)
	v_readfirstlane_b32 s20, v14
	v_readfirstlane_b32 s21, v15
	s_and_b64 s[20:21], s[20:21], s[18:19]
	s_mul_i32 s21, s21, 24
	s_mul_hi_u32 s22, s20, 24
	s_mul_i32 s20, s20, 24
	s_add_i32 s22, s22, s21
	v_add_co_u32 v18, vcc_lo, v30, s20
	v_add_co_ci_u32_e64 v19, null, s22, v31, vcc_lo
	s_mov_b32 s20, exec_lo
	global_store_dwordx2 v[18:19], v[22:23], off
	s_waitcnt_vscnt null, 0x0
	global_atomic_cmpswap_x2 v[16:17], v8, v[20:23], s[6:7] offset:32 glc
	s_waitcnt vmcnt(0)
	v_cmpx_ne_u64_e64 v[16:17], v[22:23]
	s_cbranch_execz .LBB0_147
; %bb.145:                              ;   in Loop: Header=BB0_86 Depth=2
	s_mov_b32 s21, 0
.LBB0_146:                              ;   Parent Loop BB0_39 Depth=1
                                        ;     Parent Loop BB0_86 Depth=2
                                        ; =>    This Inner Loop Header: Depth=3
	v_mov_b32_e32 v14, s18
	v_mov_b32_e32 v15, s19
	s_sleep 1
	global_store_dwordx2 v[18:19], v[16:17], off
	s_waitcnt_vscnt null, 0x0
	global_atomic_cmpswap_x2 v[14:15], v8, v[14:17], s[6:7] offset:32 glc
	s_waitcnt vmcnt(0)
	v_cmp_eq_u64_e32 vcc_lo, v[14:15], v[16:17]
	v_mov_b32_e32 v17, v15
	v_mov_b32_e32 v16, v14
	s_or_b32 s21, vcc_lo, s21
	s_andn2_b32 exec_lo, exec_lo, s21
	s_cbranch_execnz .LBB0_146
.LBB0_147:                              ;   in Loop: Header=BB0_86 Depth=2
	s_or_b32 exec_lo, exec_lo, s20
	global_load_dwordx2 v[14:15], v8, s[6:7] offset:16
	s_mov_b32 s21, exec_lo
	s_mov_b32 s20, exec_lo
	v_mbcnt_lo_u32_b32 v7, s21, 0
	v_cmpx_eq_u32_e32 0, v7
	s_cbranch_execz .LBB0_149
; %bb.148:                              ;   in Loop: Header=BB0_86 Depth=2
	s_bcnt1_i32_b32 s21, s21
	v_mov_b32_e32 v7, s21
	s_waitcnt vmcnt(0)
	global_atomic_add_x2 v[14:15], v[7:8], off offset:8
.LBB0_149:                              ;   in Loop: Header=BB0_86 Depth=2
	s_or_b32 exec_lo, exec_lo, s20
	s_waitcnt vmcnt(0)
	global_load_dwordx2 v[16:17], v[14:15], off offset:16
	s_waitcnt vmcnt(0)
	v_cmp_eq_u64_e32 vcc_lo, 0, v[16:17]
	s_cbranch_vccnz .LBB0_151
; %bb.150:                              ;   in Loop: Header=BB0_86 Depth=2
	global_load_dword v7, v[14:15], off offset:24
	s_waitcnt vmcnt(0)
	v_readfirstlane_b32 s20, v7
	s_waitcnt_vscnt null, 0x0
	global_store_dwordx2 v[16:17], v[7:8], off
	s_and_b32 m0, s20, 0x7fffff
	s_sendmsg sendmsg(MSG_INTERRUPT)
.LBB0_151:                              ;   in Loop: Header=BB0_86 Depth=2
	s_or_b32 exec_lo, exec_lo, s13
	v_add_co_u32 v14, vcc_lo, v32, v48
	v_add_co_ci_u32_e64 v15, null, 0, v33, vcc_lo
	s_branch .LBB0_155
	.p2align	6
.LBB0_152:                              ;   in Loop: Header=BB0_155 Depth=3
	s_or_b32 exec_lo, exec_lo, s13
	v_readfirstlane_b32 s13, v7
	s_cmp_eq_u32 s13, 0
	s_cbranch_scc1 .LBB0_154
; %bb.153:                              ;   in Loop: Header=BB0_155 Depth=3
	s_sleep 1
	s_cbranch_execnz .LBB0_155
	s_branch .LBB0_157
	.p2align	6
.LBB0_154:                              ;   in Loop: Header=BB0_86 Depth=2
	s_branch .LBB0_157
.LBB0_155:                              ;   Parent Loop BB0_39 Depth=1
                                        ;     Parent Loop BB0_86 Depth=2
                                        ; =>    This Inner Loop Header: Depth=3
	v_mov_b32_e32 v7, 1
	s_and_saveexec_b32 s13, s5
	s_cbranch_execz .LBB0_152
; %bb.156:                              ;   in Loop: Header=BB0_155 Depth=3
	global_load_dword v7, v[34:35], off offset:20 glc dlc
	s_waitcnt vmcnt(0)
	buffer_gl1_inv
	buffer_gl0_inv
	v_and_b32_e32 v7, 1, v7
	s_branch .LBB0_152
.LBB0_157:                              ;   in Loop: Header=BB0_86 Depth=2
	global_load_dwordx4 v[14:17], v[14:15], off
	s_and_saveexec_b32 s13, s5
	s_cbranch_execz .LBB0_85
; %bb.158:                              ;   in Loop: Header=BB0_86 Depth=2
	s_clause 0x2
	global_load_dwordx2 v[16:17], v8, s[6:7] offset:40
	global_load_dwordx2 v[24:25], v8, s[6:7] offset:24 glc dlc
	global_load_dwordx2 v[18:19], v8, s[6:7]
	s_waitcnt vmcnt(2)
	v_readfirstlane_b32 s20, v16
	v_readfirstlane_b32 s21, v17
	s_add_u32 s5, s20, 1
	s_addc_u32 s22, s21, 0
	s_add_u32 s18, s5, s18
	s_addc_u32 s19, s22, s19
	s_cmp_eq_u64 s[18:19], 0
	s_cselect_b32 s19, s22, s19
	s_cselect_b32 s18, s5, s18
	v_mov_b32_e32 v23, s19
	s_and_b64 s[20:21], s[18:19], s[20:21]
	v_mov_b32_e32 v22, s18
	s_mul_i32 s5, s21, 24
	s_mul_hi_u32 s21, s20, 24
	s_mul_i32 s20, s20, 24
	s_add_i32 s21, s21, s5
	s_waitcnt vmcnt(0)
	v_add_co_u32 v20, vcc_lo, v18, s20
	v_add_co_ci_u32_e64 v21, null, s21, v19, vcc_lo
	global_store_dwordx2 v[20:21], v[24:25], off
	s_waitcnt_vscnt null, 0x0
	global_atomic_cmpswap_x2 v[18:19], v8, v[22:25], s[6:7] offset:24 glc
	s_waitcnt vmcnt(0)
	v_cmp_ne_u64_e32 vcc_lo, v[18:19], v[24:25]
	s_and_b32 exec_lo, exec_lo, vcc_lo
	s_cbranch_execz .LBB0_85
; %bb.159:                              ;   in Loop: Header=BB0_86 Depth=2
	s_mov_b32 s5, 0
.LBB0_160:                              ;   Parent Loop BB0_39 Depth=1
                                        ;     Parent Loop BB0_86 Depth=2
                                        ; =>    This Inner Loop Header: Depth=3
	v_mov_b32_e32 v16, s18
	v_mov_b32_e32 v17, s19
	s_sleep 1
	global_store_dwordx2 v[20:21], v[18:19], off
	s_waitcnt_vscnt null, 0x0
	global_atomic_cmpswap_x2 v[16:17], v8, v[16:19], s[6:7] offset:24 glc
	s_waitcnt vmcnt(0)
	v_cmp_eq_u64_e32 vcc_lo, v[16:17], v[18:19]
	v_mov_b32_e32 v19, v17
	v_mov_b32_e32 v18, v16
	s_or_b32 s5, vcc_lo, s5
	s_andn2_b32 exec_lo, exec_lo, s5
	s_cbranch_execnz .LBB0_160
	s_branch .LBB0_85
.LBB0_161:                              ;   in Loop: Header=BB0_39 Depth=1
	s_branch .LBB0_190
.LBB0_162:                              ;   in Loop: Header=BB0_39 Depth=1
	s_cbranch_execz .LBB0_190
; %bb.163:                              ;   in Loop: Header=BB0_39 Depth=1
	v_readfirstlane_b32 s5, v37
	s_waitcnt vmcnt(0)
	v_mov_b32_e32 v14, 0
	v_mov_b32_e32 v15, 0
	v_cmp_eq_u32_e64 s5, s5, v37
	s_and_saveexec_b32 s10, s5
	s_cbranch_execz .LBB0_169
; %bb.164:                              ;   in Loop: Header=BB0_39 Depth=1
	global_load_dwordx2 v[16:17], v8, s[6:7] offset:24 glc dlc
	s_waitcnt vmcnt(0)
	buffer_gl1_inv
	buffer_gl0_inv
	s_clause 0x1
	global_load_dwordx2 v[14:15], v8, s[6:7] offset:40
	global_load_dwordx2 v[18:19], v8, s[6:7]
	s_mov_b32 s11, exec_lo
	s_waitcnt vmcnt(1)
	v_and_b32_e32 v7, v15, v17
	v_and_b32_e32 v14, v14, v16
	v_mul_lo_u32 v7, v7, 24
	v_mul_hi_u32 v15, v14, 24
	v_mul_lo_u32 v14, v14, 24
	v_add_nc_u32_e32 v7, v15, v7
	s_waitcnt vmcnt(0)
	v_add_co_u32 v14, vcc_lo, v18, v14
	v_add_co_ci_u32_e64 v15, null, v19, v7, vcc_lo
	global_load_dwordx2 v[14:15], v[14:15], off glc dlc
	s_waitcnt vmcnt(0)
	global_atomic_cmpswap_x2 v[14:15], v8, v[14:17], s[6:7] offset:24 glc
	s_waitcnt vmcnt(0)
	buffer_gl1_inv
	buffer_gl0_inv
	v_cmpx_ne_u64_e64 v[14:15], v[16:17]
	s_cbranch_execz .LBB0_168
; %bb.165:                              ;   in Loop: Header=BB0_39 Depth=1
	s_mov_b32 s13, 0
	.p2align	6
.LBB0_166:                              ;   Parent Loop BB0_39 Depth=1
                                        ; =>  This Inner Loop Header: Depth=2
	s_sleep 1
	s_clause 0x1
	global_load_dwordx2 v[18:19], v8, s[6:7] offset:40
	global_load_dwordx2 v[20:21], v8, s[6:7]
	v_mov_b32_e32 v17, v15
	v_mov_b32_e32 v16, v14
	s_waitcnt vmcnt(1)
	v_and_b32_e32 v7, v18, v16
	v_and_b32_e32 v18, v19, v17
	s_waitcnt vmcnt(0)
	v_mad_u64_u32 v[14:15], null, v7, 24, v[20:21]
	v_mov_b32_e32 v7, v15
	v_mad_u64_u32 v[18:19], null, v18, 24, v[7:8]
	v_mov_b32_e32 v15, v18
	global_load_dwordx2 v[14:15], v[14:15], off glc dlc
	s_waitcnt vmcnt(0)
	global_atomic_cmpswap_x2 v[14:15], v8, v[14:17], s[6:7] offset:24 glc
	s_waitcnt vmcnt(0)
	buffer_gl1_inv
	buffer_gl0_inv
	v_cmp_eq_u64_e32 vcc_lo, v[14:15], v[16:17]
	s_or_b32 s13, vcc_lo, s13
	s_andn2_b32 exec_lo, exec_lo, s13
	s_cbranch_execnz .LBB0_166
; %bb.167:                              ;   in Loop: Header=BB0_39 Depth=1
	s_or_b32 exec_lo, exec_lo, s13
.LBB0_168:                              ;   in Loop: Header=BB0_39 Depth=1
	s_or_b32 exec_lo, exec_lo, s11
.LBB0_169:                              ;   in Loop: Header=BB0_39 Depth=1
	s_or_b32 exec_lo, exec_lo, s10
	s_clause 0x1
	global_load_dwordx2 v[20:21], v8, s[6:7] offset:40
	global_load_dwordx4 v[16:19], v8, s[6:7]
	v_readfirstlane_b32 s11, v15
	v_readfirstlane_b32 s10, v14
	s_mov_b32 s13, exec_lo
	s_waitcnt vmcnt(1)
	v_readfirstlane_b32 s14, v20
	v_readfirstlane_b32 s15, v21
	s_and_b64 s[14:15], s[14:15], s[10:11]
	s_mul_i32 s16, s15, 24
	s_mul_hi_u32 s17, s14, 24
	s_mul_i32 s18, s14, 24
	s_add_i32 s17, s17, s16
	s_waitcnt vmcnt(0)
	v_add_co_u32 v20, vcc_lo, v16, s18
	v_add_co_ci_u32_e64 v21, null, s17, v17, vcc_lo
	s_and_saveexec_b32 s16, s5
	s_cbranch_execz .LBB0_171
; %bb.170:                              ;   in Loop: Header=BB0_39 Depth=1
	v_mov_b32_e32 v7, s13
	global_store_dwordx4 v[20:21], v[7:10], off offset:8
.LBB0_171:                              ;   in Loop: Header=BB0_39 Depth=1
	s_or_b32 exec_lo, exec_lo, s16
	s_lshl_b64 s[14:15], s[14:15], 12
	s_mov_b32 s13, s12
	v_add_co_u32 v7, vcc_lo, v18, s14
	v_add_co_ci_u32_e64 v18, null, s15, v19, vcc_lo
	s_mov_b32 s15, s12
	s_mov_b32 s14, s12
	v_and_or_b32 v12, 0xffffff1d, v12, 34
	v_mov_b32_e32 v14, v8
	v_mov_b32_e32 v15, v8
	v_readfirstlane_b32 s16, v7
	v_readfirstlane_b32 s17, v18
	v_mov_b32_e32 v25, s15
	v_mov_b32_e32 v24, s14
	;; [unrolled: 1-line block ×4, first 2 shown]
	global_store_dwordx4 v48, v[12:15], s[16:17]
	global_store_dwordx4 v48, v[22:25], s[16:17] offset:16
	global_store_dwordx4 v48, v[22:25], s[16:17] offset:32
	global_store_dwordx4 v48, v[22:25], s[16:17] offset:48
	s_and_saveexec_b32 s13, s5
	s_cbranch_execz .LBB0_179
; %bb.172:                              ;   in Loop: Header=BB0_39 Depth=1
	s_clause 0x1
	global_load_dwordx2 v[24:25], v8, s[6:7] offset:32 glc dlc
	global_load_dwordx2 v[12:13], v8, s[6:7] offset:40
	v_mov_b32_e32 v22, s10
	v_mov_b32_e32 v23, s11
	s_waitcnt vmcnt(0)
	v_readfirstlane_b32 s14, v12
	v_readfirstlane_b32 s15, v13
	s_and_b64 s[14:15], s[14:15], s[10:11]
	s_mul_i32 s15, s15, 24
	s_mul_hi_u32 s16, s14, 24
	s_mul_i32 s14, s14, 24
	s_add_i32 s16, s16, s15
	v_add_co_u32 v16, vcc_lo, v16, s14
	v_add_co_ci_u32_e64 v17, null, s16, v17, vcc_lo
	s_mov_b32 s14, exec_lo
	global_store_dwordx2 v[16:17], v[24:25], off
	s_waitcnt_vscnt null, 0x0
	global_atomic_cmpswap_x2 v[14:15], v8, v[22:25], s[6:7] offset:32 glc
	s_waitcnt vmcnt(0)
	v_cmpx_ne_u64_e64 v[14:15], v[24:25]
	s_cbranch_execz .LBB0_175
; %bb.173:                              ;   in Loop: Header=BB0_39 Depth=1
	s_mov_b32 s15, 0
.LBB0_174:                              ;   Parent Loop BB0_39 Depth=1
                                        ; =>  This Inner Loop Header: Depth=2
	v_mov_b32_e32 v12, s10
	v_mov_b32_e32 v13, s11
	s_sleep 1
	global_store_dwordx2 v[16:17], v[14:15], off
	s_waitcnt_vscnt null, 0x0
	global_atomic_cmpswap_x2 v[12:13], v8, v[12:15], s[6:7] offset:32 glc
	s_waitcnt vmcnt(0)
	v_cmp_eq_u64_e32 vcc_lo, v[12:13], v[14:15]
	v_mov_b32_e32 v15, v13
	v_mov_b32_e32 v14, v12
	s_or_b32 s15, vcc_lo, s15
	s_andn2_b32 exec_lo, exec_lo, s15
	s_cbranch_execnz .LBB0_174
.LBB0_175:                              ;   in Loop: Header=BB0_39 Depth=1
	s_or_b32 exec_lo, exec_lo, s14
	global_load_dwordx2 v[12:13], v8, s[6:7] offset:16
	s_mov_b32 s15, exec_lo
	s_mov_b32 s14, exec_lo
	v_mbcnt_lo_u32_b32 v7, s15, 0
	v_cmpx_eq_u32_e32 0, v7
	s_cbranch_execz .LBB0_177
; %bb.176:                              ;   in Loop: Header=BB0_39 Depth=1
	s_bcnt1_i32_b32 s15, s15
	v_mov_b32_e32 v7, s15
	s_waitcnt vmcnt(0)
	global_atomic_add_x2 v[12:13], v[7:8], off offset:8
.LBB0_177:                              ;   in Loop: Header=BB0_39 Depth=1
	s_or_b32 exec_lo, exec_lo, s14
	s_waitcnt vmcnt(0)
	global_load_dwordx2 v[14:15], v[12:13], off offset:16
	s_waitcnt vmcnt(0)
	v_cmp_eq_u64_e32 vcc_lo, 0, v[14:15]
	s_cbranch_vccnz .LBB0_179
; %bb.178:                              ;   in Loop: Header=BB0_39 Depth=1
	global_load_dword v7, v[12:13], off offset:24
	s_waitcnt vmcnt(0)
	v_readfirstlane_b32 s14, v7
	s_waitcnt_vscnt null, 0x0
	global_store_dwordx2 v[14:15], v[7:8], off
	s_and_b32 m0, s14, 0x7fffff
	s_sendmsg sendmsg(MSG_INTERRUPT)
.LBB0_179:                              ;   in Loop: Header=BB0_39 Depth=1
	s_or_b32 exec_lo, exec_lo, s13
	s_branch .LBB0_183
	.p2align	6
.LBB0_180:                              ;   in Loop: Header=BB0_183 Depth=2
	s_or_b32 exec_lo, exec_lo, s13
	v_readfirstlane_b32 s13, v7
	s_cmp_eq_u32 s13, 0
	s_cbranch_scc1 .LBB0_182
; %bb.181:                              ;   in Loop: Header=BB0_183 Depth=2
	s_sleep 1
	s_cbranch_execnz .LBB0_183
	s_branch .LBB0_185
	.p2align	6
.LBB0_182:                              ;   in Loop: Header=BB0_39 Depth=1
	s_branch .LBB0_185
.LBB0_183:                              ;   Parent Loop BB0_39 Depth=1
                                        ; =>  This Inner Loop Header: Depth=2
	v_mov_b32_e32 v7, 1
	s_and_saveexec_b32 s13, s5
	s_cbranch_execz .LBB0_180
; %bb.184:                              ;   in Loop: Header=BB0_183 Depth=2
	global_load_dword v7, v[20:21], off offset:20 glc dlc
	s_waitcnt vmcnt(0)
	buffer_gl1_inv
	buffer_gl0_inv
	v_and_b32_e32 v7, 1, v7
	s_branch .LBB0_180
.LBB0_185:                              ;   in Loop: Header=BB0_39 Depth=1
	s_and_saveexec_b32 s13, s5
	s_cbranch_execz .LBB0_189
; %bb.186:                              ;   in Loop: Header=BB0_39 Depth=1
	s_clause 0x2
	global_load_dwordx2 v[12:13], v8, s[6:7] offset:40
	global_load_dwordx2 v[20:21], v8, s[6:7] offset:24 glc dlc
	global_load_dwordx2 v[14:15], v8, s[6:7]
	s_waitcnt vmcnt(2)
	v_readfirstlane_b32 s14, v12
	v_readfirstlane_b32 s15, v13
	s_add_u32 s5, s14, 1
	s_addc_u32 s16, s15, 0
	s_add_u32 s10, s5, s10
	s_addc_u32 s11, s16, s11
	s_cmp_eq_u64 s[10:11], 0
	s_cselect_b32 s11, s16, s11
	s_cselect_b32 s10, s5, s10
	v_mov_b32_e32 v19, s11
	s_and_b64 s[14:15], s[10:11], s[14:15]
	v_mov_b32_e32 v18, s10
	s_mul_i32 s5, s15, 24
	s_mul_hi_u32 s15, s14, 24
	s_mul_i32 s14, s14, 24
	s_add_i32 s15, s15, s5
	s_waitcnt vmcnt(0)
	v_add_co_u32 v16, vcc_lo, v14, s14
	v_add_co_ci_u32_e64 v17, null, s15, v15, vcc_lo
	global_store_dwordx2 v[16:17], v[20:21], off
	s_waitcnt_vscnt null, 0x0
	global_atomic_cmpswap_x2 v[14:15], v8, v[18:21], s[6:7] offset:24 glc
	s_waitcnt vmcnt(0)
	v_cmp_ne_u64_e32 vcc_lo, v[14:15], v[20:21]
	s_and_b32 exec_lo, exec_lo, vcc_lo
	s_cbranch_execz .LBB0_189
; %bb.187:                              ;   in Loop: Header=BB0_39 Depth=1
	s_mov_b32 s5, 0
.LBB0_188:                              ;   Parent Loop BB0_39 Depth=1
                                        ; =>  This Inner Loop Header: Depth=2
	v_mov_b32_e32 v12, s10
	v_mov_b32_e32 v13, s11
	s_sleep 1
	global_store_dwordx2 v[16:17], v[14:15], off
	s_waitcnt_vscnt null, 0x0
	global_atomic_cmpswap_x2 v[12:13], v8, v[12:15], s[6:7] offset:24 glc
	s_waitcnt vmcnt(0)
	v_cmp_eq_u64_e32 vcc_lo, v[12:13], v[14:15]
	v_mov_b32_e32 v15, v13
	v_mov_b32_e32 v14, v12
	s_or_b32 s5, vcc_lo, s5
	s_andn2_b32 exec_lo, exec_lo, s5
	s_cbranch_execnz .LBB0_188
.LBB0_189:                              ;   in Loop: Header=BB0_39 Depth=1
	s_or_b32 exec_lo, exec_lo, s13
.LBB0_190:                              ;   in Loop: Header=BB0_39 Depth=1
	v_readfirstlane_b32 s5, v37
	s_waitcnt vmcnt(0)
	v_mov_b32_e32 v12, 0
	v_mov_b32_e32 v13, 0
	v_cmp_eq_u32_e64 s5, s5, v37
	s_and_saveexec_b32 s10, s5
	s_cbranch_execz .LBB0_196
; %bb.191:                              ;   in Loop: Header=BB0_39 Depth=1
	global_load_dwordx2 v[14:15], v8, s[6:7] offset:24 glc dlc
	s_waitcnt vmcnt(0)
	buffer_gl1_inv
	buffer_gl0_inv
	s_clause 0x1
	global_load_dwordx2 v[12:13], v8, s[6:7] offset:40
	global_load_dwordx2 v[16:17], v8, s[6:7]
	s_mov_b32 s11, exec_lo
	s_waitcnt vmcnt(1)
	v_and_b32_e32 v7, v13, v15
	v_and_b32_e32 v12, v12, v14
	v_mul_lo_u32 v7, v7, 24
	v_mul_hi_u32 v13, v12, 24
	v_mul_lo_u32 v12, v12, 24
	v_add_nc_u32_e32 v7, v13, v7
	s_waitcnt vmcnt(0)
	v_add_co_u32 v12, vcc_lo, v16, v12
	v_add_co_ci_u32_e64 v13, null, v17, v7, vcc_lo
	global_load_dwordx2 v[12:13], v[12:13], off glc dlc
	s_waitcnt vmcnt(0)
	global_atomic_cmpswap_x2 v[12:13], v8, v[12:15], s[6:7] offset:24 glc
	s_waitcnt vmcnt(0)
	buffer_gl1_inv
	buffer_gl0_inv
	v_cmpx_ne_u64_e64 v[12:13], v[14:15]
	s_cbranch_execz .LBB0_195
; %bb.192:                              ;   in Loop: Header=BB0_39 Depth=1
	s_mov_b32 s13, 0
	.p2align	6
.LBB0_193:                              ;   Parent Loop BB0_39 Depth=1
                                        ; =>  This Inner Loop Header: Depth=2
	s_sleep 1
	s_clause 0x1
	global_load_dwordx2 v[16:17], v8, s[6:7] offset:40
	global_load_dwordx2 v[18:19], v8, s[6:7]
	v_mov_b32_e32 v15, v13
	v_mov_b32_e32 v14, v12
	s_waitcnt vmcnt(1)
	v_and_b32_e32 v7, v16, v14
	v_and_b32_e32 v16, v17, v15
	s_waitcnt vmcnt(0)
	v_mad_u64_u32 v[12:13], null, v7, 24, v[18:19]
	v_mov_b32_e32 v7, v13
	v_mad_u64_u32 v[16:17], null, v16, 24, v[7:8]
	v_mov_b32_e32 v13, v16
	global_load_dwordx2 v[12:13], v[12:13], off glc dlc
	s_waitcnt vmcnt(0)
	global_atomic_cmpswap_x2 v[12:13], v8, v[12:15], s[6:7] offset:24 glc
	s_waitcnt vmcnt(0)
	buffer_gl1_inv
	buffer_gl0_inv
	v_cmp_eq_u64_e32 vcc_lo, v[12:13], v[14:15]
	s_or_b32 s13, vcc_lo, s13
	s_andn2_b32 exec_lo, exec_lo, s13
	s_cbranch_execnz .LBB0_193
; %bb.194:                              ;   in Loop: Header=BB0_39 Depth=1
	s_or_b32 exec_lo, exec_lo, s13
.LBB0_195:                              ;   in Loop: Header=BB0_39 Depth=1
	s_or_b32 exec_lo, exec_lo, s11
.LBB0_196:                              ;   in Loop: Header=BB0_39 Depth=1
	s_or_b32 exec_lo, exec_lo, s10
	s_clause 0x1
	global_load_dwordx2 v[19:20], v8, s[6:7] offset:40
	global_load_dwordx4 v[15:18], v8, s[6:7]
	v_readfirstlane_b32 s11, v13
	v_readfirstlane_b32 s10, v12
	s_mov_b32 s13, exec_lo
	s_waitcnt vmcnt(1)
	v_readfirstlane_b32 s14, v19
	v_readfirstlane_b32 s15, v20
	s_and_b64 s[14:15], s[14:15], s[10:11]
	s_mul_i32 s16, s15, 24
	s_mul_hi_u32 s17, s14, 24
	s_mul_i32 s18, s14, 24
	s_add_i32 s17, s17, s16
	s_waitcnt vmcnt(0)
	v_add_co_u32 v19, vcc_lo, v15, s18
	v_add_co_ci_u32_e64 v20, null, s17, v16, vcc_lo
	s_and_saveexec_b32 s16, s5
	s_cbranch_execz .LBB0_198
; %bb.197:                              ;   in Loop: Header=BB0_39 Depth=1
	v_mov_b32_e32 v7, s13
	global_store_dwordx4 v[19:20], v[7:10], off offset:8
.LBB0_198:                              ;   in Loop: Header=BB0_39 Depth=1
	s_or_b32 exec_lo, exec_lo, s16
	s_lshl_b64 s[14:15], s[14:15], 12
	s_mov_b32 s13, s12
	v_add_co_u32 v21, vcc_lo, v17, s14
	v_add_co_ci_u32_e64 v22, null, s15, v18, vcc_lo
	s_mov_b32 s15, s12
	s_mov_b32 s14, s12
	v_mov_b32_e32 v12, v8
	v_mov_b32_e32 v13, v8
	;; [unrolled: 1-line block ×3, first 2 shown]
	v_readfirstlane_b32 s16, v21
	v_readfirstlane_b32 s17, v22
	v_mov_b32_e32 v26, s15
	v_mov_b32_e32 v25, s14
	;; [unrolled: 1-line block ×4, first 2 shown]
	global_store_dwordx4 v48, v[11:14], s[16:17]
	global_store_dwordx4 v48, v[23:26], s[16:17] offset:16
	global_store_dwordx4 v48, v[23:26], s[16:17] offset:32
	;; [unrolled: 1-line block ×3, first 2 shown]
	s_and_saveexec_b32 s13, s5
	s_cbranch_execz .LBB0_206
; %bb.199:                              ;   in Loop: Header=BB0_39 Depth=1
	s_clause 0x1
	global_load_dwordx2 v[25:26], v8, s[6:7] offset:32 glc dlc
	global_load_dwordx2 v[12:13], v8, s[6:7] offset:40
	v_mov_b32_e32 v23, s10
	v_mov_b32_e32 v24, s11
	s_waitcnt vmcnt(0)
	v_readfirstlane_b32 s14, v12
	v_readfirstlane_b32 s15, v13
	s_and_b64 s[14:15], s[14:15], s[10:11]
	s_mul_i32 s15, s15, 24
	s_mul_hi_u32 s16, s14, 24
	s_mul_i32 s14, s14, 24
	s_add_i32 s16, s16, s15
	v_add_co_u32 v17, vcc_lo, v15, s14
	v_add_co_ci_u32_e64 v18, null, s16, v16, vcc_lo
	s_mov_b32 s14, exec_lo
	global_store_dwordx2 v[17:18], v[25:26], off
	s_waitcnt_vscnt null, 0x0
	global_atomic_cmpswap_x2 v[14:15], v8, v[23:26], s[6:7] offset:32 glc
	s_waitcnt vmcnt(0)
	v_cmpx_ne_u64_e64 v[14:15], v[25:26]
	s_cbranch_execz .LBB0_202
; %bb.200:                              ;   in Loop: Header=BB0_39 Depth=1
	s_mov_b32 s15, 0
.LBB0_201:                              ;   Parent Loop BB0_39 Depth=1
                                        ; =>  This Inner Loop Header: Depth=2
	v_mov_b32_e32 v12, s10
	v_mov_b32_e32 v13, s11
	s_sleep 1
	global_store_dwordx2 v[17:18], v[14:15], off
	s_waitcnt_vscnt null, 0x0
	global_atomic_cmpswap_x2 v[12:13], v8, v[12:15], s[6:7] offset:32 glc
	s_waitcnt vmcnt(0)
	v_cmp_eq_u64_e32 vcc_lo, v[12:13], v[14:15]
	v_mov_b32_e32 v15, v13
	v_mov_b32_e32 v14, v12
	s_or_b32 s15, vcc_lo, s15
	s_andn2_b32 exec_lo, exec_lo, s15
	s_cbranch_execnz .LBB0_201
.LBB0_202:                              ;   in Loop: Header=BB0_39 Depth=1
	s_or_b32 exec_lo, exec_lo, s14
	global_load_dwordx2 v[12:13], v8, s[6:7] offset:16
	s_mov_b32 s15, exec_lo
	s_mov_b32 s14, exec_lo
	v_mbcnt_lo_u32_b32 v7, s15, 0
	v_cmpx_eq_u32_e32 0, v7
	s_cbranch_execz .LBB0_204
; %bb.203:                              ;   in Loop: Header=BB0_39 Depth=1
	s_bcnt1_i32_b32 s15, s15
	v_mov_b32_e32 v7, s15
	s_waitcnt vmcnt(0)
	global_atomic_add_x2 v[12:13], v[7:8], off offset:8
.LBB0_204:                              ;   in Loop: Header=BB0_39 Depth=1
	s_or_b32 exec_lo, exec_lo, s14
	s_waitcnt vmcnt(0)
	global_load_dwordx2 v[14:15], v[12:13], off offset:16
	s_waitcnt vmcnt(0)
	v_cmp_eq_u64_e32 vcc_lo, 0, v[14:15]
	s_cbranch_vccnz .LBB0_206
; %bb.205:                              ;   in Loop: Header=BB0_39 Depth=1
	global_load_dword v7, v[12:13], off offset:24
	s_waitcnt vmcnt(0)
	v_readfirstlane_b32 s14, v7
	s_waitcnt_vscnt null, 0x0
	global_store_dwordx2 v[14:15], v[7:8], off
	s_and_b32 m0, s14, 0x7fffff
	s_sendmsg sendmsg(MSG_INTERRUPT)
.LBB0_206:                              ;   in Loop: Header=BB0_39 Depth=1
	s_or_b32 exec_lo, exec_lo, s13
	v_add_co_u32 v12, vcc_lo, v21, v48
	v_add_co_ci_u32_e64 v13, null, 0, v22, vcc_lo
	s_branch .LBB0_210
	.p2align	6
.LBB0_207:                              ;   in Loop: Header=BB0_210 Depth=2
	s_or_b32 exec_lo, exec_lo, s13
	v_readfirstlane_b32 s13, v7
	s_cmp_eq_u32 s13, 0
	s_cbranch_scc1 .LBB0_209
; %bb.208:                              ;   in Loop: Header=BB0_210 Depth=2
	s_sleep 1
	s_cbranch_execnz .LBB0_210
	s_branch .LBB0_212
	.p2align	6
.LBB0_209:                              ;   in Loop: Header=BB0_39 Depth=1
	s_branch .LBB0_212
.LBB0_210:                              ;   Parent Loop BB0_39 Depth=1
                                        ; =>  This Inner Loop Header: Depth=2
	v_mov_b32_e32 v7, 1
	s_and_saveexec_b32 s13, s5
	s_cbranch_execz .LBB0_207
; %bb.211:                              ;   in Loop: Header=BB0_210 Depth=2
	global_load_dword v7, v[19:20], off offset:20 glc dlc
	s_waitcnt vmcnt(0)
	buffer_gl1_inv
	buffer_gl0_inv
	v_and_b32_e32 v7, 1, v7
	s_branch .LBB0_207
.LBB0_212:                              ;   in Loop: Header=BB0_39 Depth=1
	global_load_dwordx2 v[12:13], v[12:13], off
	s_and_saveexec_b32 s13, s5
	s_cbranch_execz .LBB0_216
; %bb.213:                              ;   in Loop: Header=BB0_39 Depth=1
	s_clause 0x2
	global_load_dwordx2 v[14:15], v8, s[6:7] offset:40
	global_load_dwordx2 v[22:23], v8, s[6:7] offset:24 glc dlc
	global_load_dwordx2 v[16:17], v8, s[6:7]
	s_waitcnt vmcnt(2)
	v_readfirstlane_b32 s14, v14
	v_readfirstlane_b32 s15, v15
	s_add_u32 s5, s14, 1
	s_addc_u32 s16, s15, 0
	s_add_u32 s10, s5, s10
	s_addc_u32 s11, s16, s11
	s_cmp_eq_u64 s[10:11], 0
	s_cselect_b32 s11, s16, s11
	s_cselect_b32 s10, s5, s10
	v_mov_b32_e32 v21, s11
	s_and_b64 s[14:15], s[10:11], s[14:15]
	v_mov_b32_e32 v20, s10
	s_mul_i32 s5, s15, 24
	s_mul_hi_u32 s15, s14, 24
	s_mul_i32 s14, s14, 24
	s_add_i32 s15, s15, s5
	s_waitcnt vmcnt(0)
	v_add_co_u32 v18, vcc_lo, v16, s14
	v_add_co_ci_u32_e64 v19, null, s15, v17, vcc_lo
	global_store_dwordx2 v[18:19], v[22:23], off
	s_waitcnt_vscnt null, 0x0
	global_atomic_cmpswap_x2 v[16:17], v8, v[20:23], s[6:7] offset:24 glc
	s_waitcnt vmcnt(0)
	v_cmp_ne_u64_e32 vcc_lo, v[16:17], v[22:23]
	s_and_b32 exec_lo, exec_lo, vcc_lo
	s_cbranch_execz .LBB0_216
; %bb.214:                              ;   in Loop: Header=BB0_39 Depth=1
	s_mov_b32 s5, 0
.LBB0_215:                              ;   Parent Loop BB0_39 Depth=1
                                        ; =>  This Inner Loop Header: Depth=2
	v_mov_b32_e32 v14, s10
	v_mov_b32_e32 v15, s11
	s_sleep 1
	global_store_dwordx2 v[18:19], v[16:17], off
	s_waitcnt_vscnt null, 0x0
	global_atomic_cmpswap_x2 v[14:15], v8, v[14:17], s[6:7] offset:24 glc
	s_waitcnt vmcnt(0)
	v_cmp_eq_u64_e32 vcc_lo, v[14:15], v[16:17]
	v_mov_b32_e32 v17, v15
	v_mov_b32_e32 v16, v14
	s_or_b32 s5, vcc_lo, s5
	s_andn2_b32 exec_lo, exec_lo, s5
	s_cbranch_execnz .LBB0_215
.LBB0_216:                              ;   in Loop: Header=BB0_39 Depth=1
	s_or_b32 exec_lo, exec_lo, s13
	s_and_b32 vcc_lo, exec_lo, s24
	s_cbranch_vccz .LBB0_295
; %bb.217:                              ;   in Loop: Header=BB0_39 Depth=1
	s_waitcnt vmcnt(0)
	v_and_b32_e32 v14, -3, v12
	v_mov_b32_e32 v15, v13
	s_mov_b64 s[14:15], 39
	s_getpc_b64 s[10:11]
	s_add_u32 s10, s10, .str.2@rel32@lo+4
	s_addc_u32 s11, s11, .str.2@rel32@hi+12
	s_branch .LBB0_219
.LBB0_218:                              ;   in Loop: Header=BB0_219 Depth=2
	s_or_b32 exec_lo, exec_lo, s13
	s_sub_u32 s14, s14, s16
	s_subb_u32 s15, s15, s17
	s_add_u32 s10, s10, s16
	s_addc_u32 s11, s11, s17
	s_cmp_lg_u64 s[14:15], 0
	s_cbranch_scc0 .LBB0_294
.LBB0_219:                              ;   Parent Loop BB0_39 Depth=1
                                        ; =>  This Loop Header: Depth=2
                                        ;       Child Loop BB0_222 Depth 3
                                        ;       Child Loop BB0_229 Depth 3
	;; [unrolled: 1-line block ×11, first 2 shown]
	v_cmp_lt_u64_e64 s5, s[14:15], 56
	v_cmp_gt_u64_e64 s13, s[14:15], 7
	s_and_b32 s5, s5, exec_lo
	s_cselect_b32 s17, s15, 0
	s_cselect_b32 s16, s14, 56
	s_add_u32 s18, s10, 8
	s_addc_u32 s19, s11, 0
	s_and_b32 vcc_lo, exec_lo, s13
	s_cbranch_vccnz .LBB0_224
; %bb.220:                              ;   in Loop: Header=BB0_219 Depth=2
	s_waitcnt vmcnt(0)
	v_mov_b32_e32 v16, 0
	v_mov_b32_e32 v17, 0
	s_cmp_eq_u64 s[14:15], 0
	s_cbranch_scc1 .LBB0_223
; %bb.221:                              ;   in Loop: Header=BB0_219 Depth=2
	s_lshl_b64 s[18:19], s[16:17], 3
	s_mov_b64 s[20:21], 0
	s_mov_b64 s[22:23], s[10:11]
.LBB0_222:                              ;   Parent Loop BB0_39 Depth=1
                                        ;     Parent Loop BB0_219 Depth=2
                                        ; =>    This Inner Loop Header: Depth=3
	global_load_ubyte v7, v8, s[22:23]
	s_waitcnt vmcnt(0)
	v_and_b32_e32 v7, 0xffff, v7
	v_lshlrev_b64 v[18:19], s20, v[7:8]
	s_add_u32 s20, s20, 8
	s_addc_u32 s21, s21, 0
	s_add_u32 s22, s22, 1
	s_addc_u32 s23, s23, 0
	s_cmp_lg_u32 s18, s20
	v_or_b32_e32 v16, v18, v16
	v_or_b32_e32 v17, v19, v17
	s_cbranch_scc1 .LBB0_222
.LBB0_223:                              ;   in Loop: Header=BB0_219 Depth=2
	s_mov_b64 s[18:19], s[10:11]
	s_mov_b32 s5, 0
	s_cbranch_execz .LBB0_225
	s_branch .LBB0_226
.LBB0_224:                              ;   in Loop: Header=BB0_219 Depth=2
	s_mov_b32 s5, 0
.LBB0_225:                              ;   in Loop: Header=BB0_219 Depth=2
	global_load_dwordx2 v[16:17], v8, s[10:11]
	s_add_i32 s5, s16, -8
.LBB0_226:                              ;   in Loop: Header=BB0_219 Depth=2
	s_add_u32 s20, s18, 8
	s_addc_u32 s21, s19, 0
	s_cmp_gt_u32 s5, 7
	s_cbranch_scc1 .LBB0_231
; %bb.227:                              ;   in Loop: Header=BB0_219 Depth=2
	v_mov_b32_e32 v18, 0
	v_mov_b32_e32 v19, 0
	s_cmp_eq_u32 s5, 0
	s_cbranch_scc1 .LBB0_230
; %bb.228:                              ;   in Loop: Header=BB0_219 Depth=2
	s_mov_b64 s[20:21], 0
	s_mov_b64 s[22:23], 0
.LBB0_229:                              ;   Parent Loop BB0_39 Depth=1
                                        ;     Parent Loop BB0_219 Depth=2
                                        ; =>    This Inner Loop Header: Depth=3
	s_add_u32 s28, s18, s22
	s_addc_u32 s29, s19, s23
	s_add_u32 s22, s22, 1
	global_load_ubyte v7, v8, s[28:29]
	s_addc_u32 s23, s23, 0
	s_waitcnt vmcnt(0)
	v_and_b32_e32 v7, 0xffff, v7
	v_lshlrev_b64 v[20:21], s20, v[7:8]
	s_add_u32 s20, s20, 8
	s_addc_u32 s21, s21, 0
	s_cmp_lg_u32 s5, s22
	v_or_b32_e32 v18, v20, v18
	v_or_b32_e32 v19, v21, v19
	s_cbranch_scc1 .LBB0_229
.LBB0_230:                              ;   in Loop: Header=BB0_219 Depth=2
	s_mov_b64 s[20:21], s[18:19]
	s_mov_b32 s13, 0
	s_cbranch_execz .LBB0_232
	s_branch .LBB0_233
.LBB0_231:                              ;   in Loop: Header=BB0_219 Depth=2
                                        ; implicit-def: $vgpr18_vgpr19
	s_mov_b32 s13, 0
.LBB0_232:                              ;   in Loop: Header=BB0_219 Depth=2
	global_load_dwordx2 v[18:19], v8, s[18:19]
	s_add_i32 s13, s5, -8
.LBB0_233:                              ;   in Loop: Header=BB0_219 Depth=2
	s_add_u32 s18, s20, 8
	s_addc_u32 s19, s21, 0
	s_cmp_gt_u32 s13, 7
	s_cbranch_scc1 .LBB0_238
; %bb.234:                              ;   in Loop: Header=BB0_219 Depth=2
	v_mov_b32_e32 v20, 0
	v_mov_b32_e32 v21, 0
	s_cmp_eq_u32 s13, 0
	s_cbranch_scc1 .LBB0_237
; %bb.235:                              ;   in Loop: Header=BB0_219 Depth=2
	s_mov_b64 s[18:19], 0
	s_mov_b64 s[22:23], 0
.LBB0_236:                              ;   Parent Loop BB0_39 Depth=1
                                        ;     Parent Loop BB0_219 Depth=2
                                        ; =>    This Inner Loop Header: Depth=3
	s_add_u32 s28, s20, s22
	s_addc_u32 s29, s21, s23
	s_add_u32 s22, s22, 1
	global_load_ubyte v7, v8, s[28:29]
	s_addc_u32 s23, s23, 0
	s_waitcnt vmcnt(0)
	v_and_b32_e32 v7, 0xffff, v7
	v_lshlrev_b64 v[22:23], s18, v[7:8]
	s_add_u32 s18, s18, 8
	s_addc_u32 s19, s19, 0
	s_cmp_lg_u32 s13, s22
	v_or_b32_e32 v20, v22, v20
	v_or_b32_e32 v21, v23, v21
	s_cbranch_scc1 .LBB0_236
.LBB0_237:                              ;   in Loop: Header=BB0_219 Depth=2
	s_mov_b64 s[18:19], s[20:21]
	s_mov_b32 s5, 0
	s_cbranch_execz .LBB0_239
	s_branch .LBB0_240
.LBB0_238:                              ;   in Loop: Header=BB0_219 Depth=2
	s_mov_b32 s5, 0
.LBB0_239:                              ;   in Loop: Header=BB0_219 Depth=2
	global_load_dwordx2 v[20:21], v8, s[20:21]
	s_add_i32 s5, s13, -8
.LBB0_240:                              ;   in Loop: Header=BB0_219 Depth=2
	s_add_u32 s20, s18, 8
	s_addc_u32 s21, s19, 0
	s_cmp_gt_u32 s5, 7
	s_cbranch_scc1 .LBB0_245
; %bb.241:                              ;   in Loop: Header=BB0_219 Depth=2
	v_mov_b32_e32 v22, 0
	v_mov_b32_e32 v23, 0
	s_cmp_eq_u32 s5, 0
	s_cbranch_scc1 .LBB0_244
; %bb.242:                              ;   in Loop: Header=BB0_219 Depth=2
	s_mov_b64 s[20:21], 0
	s_mov_b64 s[22:23], 0
.LBB0_243:                              ;   Parent Loop BB0_39 Depth=1
                                        ;     Parent Loop BB0_219 Depth=2
                                        ; =>    This Inner Loop Header: Depth=3
	s_add_u32 s28, s18, s22
	s_addc_u32 s29, s19, s23
	s_add_u32 s22, s22, 1
	global_load_ubyte v7, v8, s[28:29]
	s_addc_u32 s23, s23, 0
	s_waitcnt vmcnt(0)
	v_and_b32_e32 v7, 0xffff, v7
	v_lshlrev_b64 v[24:25], s20, v[7:8]
	s_add_u32 s20, s20, 8
	s_addc_u32 s21, s21, 0
	s_cmp_lg_u32 s5, s22
	v_or_b32_e32 v22, v24, v22
	v_or_b32_e32 v23, v25, v23
	s_cbranch_scc1 .LBB0_243
.LBB0_244:                              ;   in Loop: Header=BB0_219 Depth=2
	s_mov_b64 s[20:21], s[18:19]
	s_mov_b32 s13, 0
	s_cbranch_execz .LBB0_246
	s_branch .LBB0_247
.LBB0_245:                              ;   in Loop: Header=BB0_219 Depth=2
                                        ; implicit-def: $vgpr22_vgpr23
	s_mov_b32 s13, 0
.LBB0_246:                              ;   in Loop: Header=BB0_219 Depth=2
	global_load_dwordx2 v[22:23], v8, s[18:19]
	s_add_i32 s13, s5, -8
.LBB0_247:                              ;   in Loop: Header=BB0_219 Depth=2
	s_add_u32 s18, s20, 8
	s_addc_u32 s19, s21, 0
	s_cmp_gt_u32 s13, 7
	s_cbranch_scc1 .LBB0_252
; %bb.248:                              ;   in Loop: Header=BB0_219 Depth=2
	v_mov_b32_e32 v24, 0
	v_mov_b32_e32 v25, 0
	s_cmp_eq_u32 s13, 0
	s_cbranch_scc1 .LBB0_251
; %bb.249:                              ;   in Loop: Header=BB0_219 Depth=2
	s_mov_b64 s[18:19], 0
	s_mov_b64 s[22:23], 0
.LBB0_250:                              ;   Parent Loop BB0_39 Depth=1
                                        ;     Parent Loop BB0_219 Depth=2
                                        ; =>    This Inner Loop Header: Depth=3
	s_add_u32 s28, s20, s22
	s_addc_u32 s29, s21, s23
	s_add_u32 s22, s22, 1
	global_load_ubyte v7, v8, s[28:29]
	s_addc_u32 s23, s23, 0
	s_waitcnt vmcnt(0)
	v_and_b32_e32 v7, 0xffff, v7
	v_lshlrev_b64 v[26:27], s18, v[7:8]
	s_add_u32 s18, s18, 8
	s_addc_u32 s19, s19, 0
	s_cmp_lg_u32 s13, s22
	v_or_b32_e32 v24, v26, v24
	v_or_b32_e32 v25, v27, v25
	s_cbranch_scc1 .LBB0_250
.LBB0_251:                              ;   in Loop: Header=BB0_219 Depth=2
	s_mov_b64 s[18:19], s[20:21]
	s_mov_b32 s5, 0
	s_cbranch_execz .LBB0_253
	s_branch .LBB0_254
.LBB0_252:                              ;   in Loop: Header=BB0_219 Depth=2
	s_mov_b32 s5, 0
.LBB0_253:                              ;   in Loop: Header=BB0_219 Depth=2
	global_load_dwordx2 v[24:25], v8, s[20:21]
	s_add_i32 s5, s13, -8
.LBB0_254:                              ;   in Loop: Header=BB0_219 Depth=2
	s_add_u32 s20, s18, 8
	s_addc_u32 s21, s19, 0
	s_cmp_gt_u32 s5, 7
	s_cbranch_scc1 .LBB0_259
; %bb.255:                              ;   in Loop: Header=BB0_219 Depth=2
	v_mov_b32_e32 v26, 0
	v_mov_b32_e32 v27, 0
	s_cmp_eq_u32 s5, 0
	s_cbranch_scc1 .LBB0_258
; %bb.256:                              ;   in Loop: Header=BB0_219 Depth=2
	s_mov_b64 s[20:21], 0
	s_mov_b64 s[22:23], 0
.LBB0_257:                              ;   Parent Loop BB0_39 Depth=1
                                        ;     Parent Loop BB0_219 Depth=2
                                        ; =>    This Inner Loop Header: Depth=3
	s_add_u32 s28, s18, s22
	s_addc_u32 s29, s19, s23
	s_add_u32 s22, s22, 1
	global_load_ubyte v7, v8, s[28:29]
	s_addc_u32 s23, s23, 0
	s_waitcnt vmcnt(0)
	v_and_b32_e32 v7, 0xffff, v7
	v_lshlrev_b64 v[28:29], s20, v[7:8]
	s_add_u32 s20, s20, 8
	s_addc_u32 s21, s21, 0
	s_cmp_lg_u32 s5, s22
	v_or_b32_e32 v26, v28, v26
	v_or_b32_e32 v27, v29, v27
	s_cbranch_scc1 .LBB0_257
.LBB0_258:                              ;   in Loop: Header=BB0_219 Depth=2
	s_mov_b64 s[20:21], s[18:19]
	s_mov_b32 s13, 0
	s_cbranch_execz .LBB0_260
	s_branch .LBB0_261
.LBB0_259:                              ;   in Loop: Header=BB0_219 Depth=2
                                        ; implicit-def: $vgpr26_vgpr27
	s_mov_b32 s13, 0
.LBB0_260:                              ;   in Loop: Header=BB0_219 Depth=2
	global_load_dwordx2 v[26:27], v8, s[18:19]
	s_add_i32 s13, s5, -8
.LBB0_261:                              ;   in Loop: Header=BB0_219 Depth=2
	s_cmp_gt_u32 s13, 7
	s_cbranch_scc1 .LBB0_266
; %bb.262:                              ;   in Loop: Header=BB0_219 Depth=2
	v_mov_b32_e32 v28, 0
	v_mov_b32_e32 v29, 0
	s_cmp_eq_u32 s13, 0
	s_cbranch_scc1 .LBB0_265
; %bb.263:                              ;   in Loop: Header=BB0_219 Depth=2
	s_mov_b64 s[18:19], 0
	s_mov_b64 s[22:23], s[20:21]
.LBB0_264:                              ;   Parent Loop BB0_39 Depth=1
                                        ;     Parent Loop BB0_219 Depth=2
                                        ; =>    This Inner Loop Header: Depth=3
	global_load_ubyte v7, v8, s[22:23]
	s_add_i32 s13, s13, -1
	s_waitcnt vmcnt(0)
	v_and_b32_e32 v7, 0xffff, v7
	v_lshlrev_b64 v[30:31], s18, v[7:8]
	s_add_u32 s18, s18, 8
	s_addc_u32 s19, s19, 0
	s_add_u32 s22, s22, 1
	s_addc_u32 s23, s23, 0
	s_cmp_lg_u32 s13, 0
	v_or_b32_e32 v28, v30, v28
	v_or_b32_e32 v29, v31, v29
	s_cbranch_scc1 .LBB0_264
.LBB0_265:                              ;   in Loop: Header=BB0_219 Depth=2
	s_cbranch_execz .LBB0_267
	s_branch .LBB0_268
.LBB0_266:                              ;   in Loop: Header=BB0_219 Depth=2
.LBB0_267:                              ;   in Loop: Header=BB0_219 Depth=2
	global_load_dwordx2 v[28:29], v8, s[20:21]
.LBB0_268:                              ;   in Loop: Header=BB0_219 Depth=2
	v_readfirstlane_b32 s5, v37
	v_mov_b32_e32 v34, 0
	v_mov_b32_e32 v35, 0
	v_cmp_eq_u32_e64 s5, s5, v37
	s_and_saveexec_b32 s13, s5
	s_cbranch_execz .LBB0_274
; %bb.269:                              ;   in Loop: Header=BB0_219 Depth=2
	global_load_dwordx2 v[32:33], v8, s[6:7] offset:24 glc dlc
	s_waitcnt vmcnt(0)
	buffer_gl1_inv
	buffer_gl0_inv
	s_clause 0x1
	global_load_dwordx2 v[30:31], v8, s[6:7] offset:40
	global_load_dwordx2 v[34:35], v8, s[6:7]
	s_mov_b32 s18, exec_lo
	s_waitcnt vmcnt(1)
	v_and_b32_e32 v7, v31, v33
	v_and_b32_e32 v30, v30, v32
	v_mul_lo_u32 v7, v7, 24
	v_mul_hi_u32 v31, v30, 24
	v_mul_lo_u32 v30, v30, 24
	v_add_nc_u32_e32 v7, v31, v7
	s_waitcnt vmcnt(0)
	v_add_co_u32 v30, vcc_lo, v34, v30
	v_add_co_ci_u32_e64 v31, null, v35, v7, vcc_lo
	global_load_dwordx2 v[30:31], v[30:31], off glc dlc
	s_waitcnt vmcnt(0)
	global_atomic_cmpswap_x2 v[34:35], v8, v[30:33], s[6:7] offset:24 glc
	s_waitcnt vmcnt(0)
	buffer_gl1_inv
	buffer_gl0_inv
	v_cmpx_ne_u64_e64 v[34:35], v[32:33]
	s_cbranch_execz .LBB0_273
; %bb.270:                              ;   in Loop: Header=BB0_219 Depth=2
	s_mov_b32 s19, 0
	.p2align	6
.LBB0_271:                              ;   Parent Loop BB0_39 Depth=1
                                        ;     Parent Loop BB0_219 Depth=2
                                        ; =>    This Inner Loop Header: Depth=3
	s_sleep 1
	s_clause 0x1
	global_load_dwordx2 v[30:31], v8, s[6:7] offset:40
	global_load_dwordx2 v[49:50], v8, s[6:7]
	v_mov_b32_e32 v32, v34
	v_mov_b32_e32 v33, v35
	s_waitcnt vmcnt(1)
	v_and_b32_e32 v7, v30, v32
	v_and_b32_e32 v30, v31, v33
	s_waitcnt vmcnt(0)
	v_mad_u64_u32 v[34:35], null, v7, 24, v[49:50]
	v_mov_b32_e32 v7, v35
	v_mad_u64_u32 v[30:31], null, v30, 24, v[7:8]
	v_mov_b32_e32 v35, v30
	global_load_dwordx2 v[30:31], v[34:35], off glc dlc
	s_waitcnt vmcnt(0)
	global_atomic_cmpswap_x2 v[34:35], v8, v[30:33], s[6:7] offset:24 glc
	s_waitcnt vmcnt(0)
	buffer_gl1_inv
	buffer_gl0_inv
	v_cmp_eq_u64_e32 vcc_lo, v[34:35], v[32:33]
	s_or_b32 s19, vcc_lo, s19
	s_andn2_b32 exec_lo, exec_lo, s19
	s_cbranch_execnz .LBB0_271
; %bb.272:                              ;   in Loop: Header=BB0_219 Depth=2
	s_or_b32 exec_lo, exec_lo, s19
.LBB0_273:                              ;   in Loop: Header=BB0_219 Depth=2
	s_or_b32 exec_lo, exec_lo, s18
.LBB0_274:                              ;   in Loop: Header=BB0_219 Depth=2
	s_or_b32 exec_lo, exec_lo, s13
	s_clause 0x1
	global_load_dwordx2 v[49:50], v8, s[6:7] offset:40
	global_load_dwordx4 v[30:33], v8, s[6:7]
	v_readfirstlane_b32 s19, v35
	v_readfirstlane_b32 s18, v34
	s_mov_b32 s13, exec_lo
	s_waitcnt vmcnt(1)
	v_readfirstlane_b32 s20, v49
	v_readfirstlane_b32 s21, v50
	s_and_b64 s[20:21], s[20:21], s[18:19]
	s_mul_i32 s22, s21, 24
	s_mul_hi_u32 s23, s20, 24
	s_mul_i32 s27, s20, 24
	s_add_i32 s23, s23, s22
	s_waitcnt vmcnt(0)
	v_add_co_u32 v34, vcc_lo, v30, s27
	v_add_co_ci_u32_e64 v35, null, s23, v31, vcc_lo
	s_and_saveexec_b32 s22, s5
	s_cbranch_execz .LBB0_276
; %bb.275:                              ;   in Loop: Header=BB0_219 Depth=2
	v_mov_b32_e32 v7, s13
	global_store_dwordx4 v[34:35], v[7:10], off offset:8
.LBB0_276:                              ;   in Loop: Header=BB0_219 Depth=2
	s_or_b32 exec_lo, exec_lo, s22
	v_cmp_gt_u64_e64 s13, s[14:15], 56
	s_lshl_b64 s[20:21], s[20:21], 12
	v_and_b32_e32 v7, 0xffffff1f, v14
	v_add_co_u32 v32, vcc_lo, v32, s20
	v_add_co_ci_u32_e64 v33, null, s21, v33, vcc_lo
	s_and_b32 s13, s13, exec_lo
	s_cselect_b32 s13, 0, 2
	s_lshl_b32 s22, s16, 2
	v_or_b32_e32 v7, s13, v7
	v_readfirstlane_b32 s20, v32
	v_readfirstlane_b32 s21, v33
	s_add_i32 s22, s22, 28
	v_and_or_b32 v14, 0x1e0, s22, v7
	global_store_dwordx4 v48, v[18:21], s[20:21] offset:16
	global_store_dwordx4 v48, v[22:25], s[20:21] offset:32
	global_store_dwordx4 v48, v[14:17], s[20:21]
	global_store_dwordx4 v48, v[26:29], s[20:21] offset:48
	s_and_saveexec_b32 s13, s5
	s_cbranch_execz .LBB0_284
; %bb.277:                              ;   in Loop: Header=BB0_219 Depth=2
	s_clause 0x1
	global_load_dwordx2 v[22:23], v8, s[6:7] offset:32 glc dlc
	global_load_dwordx2 v[14:15], v8, s[6:7] offset:40
	v_mov_b32_e32 v20, s18
	v_mov_b32_e32 v21, s19
	s_waitcnt vmcnt(0)
	v_readfirstlane_b32 s20, v14
	v_readfirstlane_b32 s21, v15
	s_and_b64 s[20:21], s[20:21], s[18:19]
	s_mul_i32 s21, s21, 24
	s_mul_hi_u32 s22, s20, 24
	s_mul_i32 s20, s20, 24
	s_add_i32 s22, s22, s21
	v_add_co_u32 v18, vcc_lo, v30, s20
	v_add_co_ci_u32_e64 v19, null, s22, v31, vcc_lo
	s_mov_b32 s20, exec_lo
	global_store_dwordx2 v[18:19], v[22:23], off
	s_waitcnt_vscnt null, 0x0
	global_atomic_cmpswap_x2 v[16:17], v8, v[20:23], s[6:7] offset:32 glc
	s_waitcnt vmcnt(0)
	v_cmpx_ne_u64_e64 v[16:17], v[22:23]
	s_cbranch_execz .LBB0_280
; %bb.278:                              ;   in Loop: Header=BB0_219 Depth=2
	s_mov_b32 s21, 0
.LBB0_279:                              ;   Parent Loop BB0_39 Depth=1
                                        ;     Parent Loop BB0_219 Depth=2
                                        ; =>    This Inner Loop Header: Depth=3
	v_mov_b32_e32 v14, s18
	v_mov_b32_e32 v15, s19
	s_sleep 1
	global_store_dwordx2 v[18:19], v[16:17], off
	s_waitcnt_vscnt null, 0x0
	global_atomic_cmpswap_x2 v[14:15], v8, v[14:17], s[6:7] offset:32 glc
	s_waitcnt vmcnt(0)
	v_cmp_eq_u64_e32 vcc_lo, v[14:15], v[16:17]
	v_mov_b32_e32 v17, v15
	v_mov_b32_e32 v16, v14
	s_or_b32 s21, vcc_lo, s21
	s_andn2_b32 exec_lo, exec_lo, s21
	s_cbranch_execnz .LBB0_279
.LBB0_280:                              ;   in Loop: Header=BB0_219 Depth=2
	s_or_b32 exec_lo, exec_lo, s20
	global_load_dwordx2 v[14:15], v8, s[6:7] offset:16
	s_mov_b32 s21, exec_lo
	s_mov_b32 s20, exec_lo
	v_mbcnt_lo_u32_b32 v7, s21, 0
	v_cmpx_eq_u32_e32 0, v7
	s_cbranch_execz .LBB0_282
; %bb.281:                              ;   in Loop: Header=BB0_219 Depth=2
	s_bcnt1_i32_b32 s21, s21
	v_mov_b32_e32 v7, s21
	s_waitcnt vmcnt(0)
	global_atomic_add_x2 v[14:15], v[7:8], off offset:8
.LBB0_282:                              ;   in Loop: Header=BB0_219 Depth=2
	s_or_b32 exec_lo, exec_lo, s20
	s_waitcnt vmcnt(0)
	global_load_dwordx2 v[16:17], v[14:15], off offset:16
	s_waitcnt vmcnt(0)
	v_cmp_eq_u64_e32 vcc_lo, 0, v[16:17]
	s_cbranch_vccnz .LBB0_284
; %bb.283:                              ;   in Loop: Header=BB0_219 Depth=2
	global_load_dword v7, v[14:15], off offset:24
	s_waitcnt vmcnt(0)
	v_readfirstlane_b32 s20, v7
	s_waitcnt_vscnt null, 0x0
	global_store_dwordx2 v[16:17], v[7:8], off
	s_and_b32 m0, s20, 0x7fffff
	s_sendmsg sendmsg(MSG_INTERRUPT)
.LBB0_284:                              ;   in Loop: Header=BB0_219 Depth=2
	s_or_b32 exec_lo, exec_lo, s13
	v_add_co_u32 v14, vcc_lo, v32, v48
	v_add_co_ci_u32_e64 v15, null, 0, v33, vcc_lo
	s_branch .LBB0_288
	.p2align	6
.LBB0_285:                              ;   in Loop: Header=BB0_288 Depth=3
	s_or_b32 exec_lo, exec_lo, s13
	v_readfirstlane_b32 s13, v7
	s_cmp_eq_u32 s13, 0
	s_cbranch_scc1 .LBB0_287
; %bb.286:                              ;   in Loop: Header=BB0_288 Depth=3
	s_sleep 1
	s_cbranch_execnz .LBB0_288
	s_branch .LBB0_290
	.p2align	6
.LBB0_287:                              ;   in Loop: Header=BB0_219 Depth=2
	s_branch .LBB0_290
.LBB0_288:                              ;   Parent Loop BB0_39 Depth=1
                                        ;     Parent Loop BB0_219 Depth=2
                                        ; =>    This Inner Loop Header: Depth=3
	v_mov_b32_e32 v7, 1
	s_and_saveexec_b32 s13, s5
	s_cbranch_execz .LBB0_285
; %bb.289:                              ;   in Loop: Header=BB0_288 Depth=3
	global_load_dword v7, v[34:35], off offset:20 glc dlc
	s_waitcnt vmcnt(0)
	buffer_gl1_inv
	buffer_gl0_inv
	v_and_b32_e32 v7, 1, v7
	s_branch .LBB0_285
.LBB0_290:                              ;   in Loop: Header=BB0_219 Depth=2
	global_load_dwordx4 v[14:17], v[14:15], off
	s_and_saveexec_b32 s13, s5
	s_cbranch_execz .LBB0_218
; %bb.291:                              ;   in Loop: Header=BB0_219 Depth=2
	s_clause 0x2
	global_load_dwordx2 v[16:17], v8, s[6:7] offset:40
	global_load_dwordx2 v[24:25], v8, s[6:7] offset:24 glc dlc
	global_load_dwordx2 v[18:19], v8, s[6:7]
	s_waitcnt vmcnt(2)
	v_readfirstlane_b32 s20, v16
	v_readfirstlane_b32 s21, v17
	s_add_u32 s5, s20, 1
	s_addc_u32 s22, s21, 0
	s_add_u32 s18, s5, s18
	s_addc_u32 s19, s22, s19
	s_cmp_eq_u64 s[18:19], 0
	s_cselect_b32 s19, s22, s19
	s_cselect_b32 s18, s5, s18
	v_mov_b32_e32 v23, s19
	s_and_b64 s[20:21], s[18:19], s[20:21]
	v_mov_b32_e32 v22, s18
	s_mul_i32 s5, s21, 24
	s_mul_hi_u32 s21, s20, 24
	s_mul_i32 s20, s20, 24
	s_add_i32 s21, s21, s5
	s_waitcnt vmcnt(0)
	v_add_co_u32 v20, vcc_lo, v18, s20
	v_add_co_ci_u32_e64 v21, null, s21, v19, vcc_lo
	global_store_dwordx2 v[20:21], v[24:25], off
	s_waitcnt_vscnt null, 0x0
	global_atomic_cmpswap_x2 v[18:19], v8, v[22:25], s[6:7] offset:24 glc
	s_waitcnt vmcnt(0)
	v_cmp_ne_u64_e32 vcc_lo, v[18:19], v[24:25]
	s_and_b32 exec_lo, exec_lo, vcc_lo
	s_cbranch_execz .LBB0_218
; %bb.292:                              ;   in Loop: Header=BB0_219 Depth=2
	s_mov_b32 s5, 0
.LBB0_293:                              ;   Parent Loop BB0_39 Depth=1
                                        ;     Parent Loop BB0_219 Depth=2
                                        ; =>    This Inner Loop Header: Depth=3
	v_mov_b32_e32 v16, s18
	v_mov_b32_e32 v17, s19
	s_sleep 1
	global_store_dwordx2 v[20:21], v[18:19], off
	s_waitcnt_vscnt null, 0x0
	global_atomic_cmpswap_x2 v[16:17], v8, v[16:19], s[6:7] offset:24 glc
	s_waitcnt vmcnt(0)
	v_cmp_eq_u64_e32 vcc_lo, v[16:17], v[18:19]
	v_mov_b32_e32 v19, v17
	v_mov_b32_e32 v18, v16
	s_or_b32 s5, vcc_lo, s5
	s_andn2_b32 exec_lo, exec_lo, s5
	s_cbranch_execnz .LBB0_293
	s_branch .LBB0_218
.LBB0_294:                              ;   in Loop: Header=BB0_39 Depth=1
	s_branch .LBB0_323
.LBB0_295:                              ;   in Loop: Header=BB0_39 Depth=1
	s_cbranch_execz .LBB0_323
; %bb.296:                              ;   in Loop: Header=BB0_39 Depth=1
	v_readfirstlane_b32 s5, v37
	s_waitcnt vmcnt(0)
	v_mov_b32_e32 v14, 0
	v_mov_b32_e32 v15, 0
	v_cmp_eq_u32_e64 s5, s5, v37
	s_and_saveexec_b32 s10, s5
	s_cbranch_execz .LBB0_302
; %bb.297:                              ;   in Loop: Header=BB0_39 Depth=1
	global_load_dwordx2 v[16:17], v8, s[6:7] offset:24 glc dlc
	s_waitcnt vmcnt(0)
	buffer_gl1_inv
	buffer_gl0_inv
	s_clause 0x1
	global_load_dwordx2 v[14:15], v8, s[6:7] offset:40
	global_load_dwordx2 v[18:19], v8, s[6:7]
	s_mov_b32 s11, exec_lo
	s_waitcnt vmcnt(1)
	v_and_b32_e32 v7, v15, v17
	v_and_b32_e32 v14, v14, v16
	v_mul_lo_u32 v7, v7, 24
	v_mul_hi_u32 v15, v14, 24
	v_mul_lo_u32 v14, v14, 24
	v_add_nc_u32_e32 v7, v15, v7
	s_waitcnt vmcnt(0)
	v_add_co_u32 v14, vcc_lo, v18, v14
	v_add_co_ci_u32_e64 v15, null, v19, v7, vcc_lo
	global_load_dwordx2 v[14:15], v[14:15], off glc dlc
	s_waitcnt vmcnt(0)
	global_atomic_cmpswap_x2 v[14:15], v8, v[14:17], s[6:7] offset:24 glc
	s_waitcnt vmcnt(0)
	buffer_gl1_inv
	buffer_gl0_inv
	v_cmpx_ne_u64_e64 v[14:15], v[16:17]
	s_cbranch_execz .LBB0_301
; %bb.298:                              ;   in Loop: Header=BB0_39 Depth=1
	s_mov_b32 s13, 0
	.p2align	6
.LBB0_299:                              ;   Parent Loop BB0_39 Depth=1
                                        ; =>  This Inner Loop Header: Depth=2
	s_sleep 1
	s_clause 0x1
	global_load_dwordx2 v[18:19], v8, s[6:7] offset:40
	global_load_dwordx2 v[20:21], v8, s[6:7]
	v_mov_b32_e32 v17, v15
	v_mov_b32_e32 v16, v14
	s_waitcnt vmcnt(1)
	v_and_b32_e32 v7, v18, v16
	v_and_b32_e32 v18, v19, v17
	s_waitcnt vmcnt(0)
	v_mad_u64_u32 v[14:15], null, v7, 24, v[20:21]
	v_mov_b32_e32 v7, v15
	v_mad_u64_u32 v[18:19], null, v18, 24, v[7:8]
	v_mov_b32_e32 v15, v18
	global_load_dwordx2 v[14:15], v[14:15], off glc dlc
	s_waitcnt vmcnt(0)
	global_atomic_cmpswap_x2 v[14:15], v8, v[14:17], s[6:7] offset:24 glc
	s_waitcnt vmcnt(0)
	buffer_gl1_inv
	buffer_gl0_inv
	v_cmp_eq_u64_e32 vcc_lo, v[14:15], v[16:17]
	s_or_b32 s13, vcc_lo, s13
	s_andn2_b32 exec_lo, exec_lo, s13
	s_cbranch_execnz .LBB0_299
; %bb.300:                              ;   in Loop: Header=BB0_39 Depth=1
	s_or_b32 exec_lo, exec_lo, s13
.LBB0_301:                              ;   in Loop: Header=BB0_39 Depth=1
	s_or_b32 exec_lo, exec_lo, s11
.LBB0_302:                              ;   in Loop: Header=BB0_39 Depth=1
	s_or_b32 exec_lo, exec_lo, s10
	s_clause 0x1
	global_load_dwordx2 v[20:21], v8, s[6:7] offset:40
	global_load_dwordx4 v[16:19], v8, s[6:7]
	v_readfirstlane_b32 s11, v15
	v_readfirstlane_b32 s10, v14
	s_mov_b32 s13, exec_lo
	s_waitcnt vmcnt(1)
	v_readfirstlane_b32 s14, v20
	v_readfirstlane_b32 s15, v21
	s_and_b64 s[14:15], s[14:15], s[10:11]
	s_mul_i32 s16, s15, 24
	s_mul_hi_u32 s17, s14, 24
	s_mul_i32 s18, s14, 24
	s_add_i32 s17, s17, s16
	s_waitcnt vmcnt(0)
	v_add_co_u32 v20, vcc_lo, v16, s18
	v_add_co_ci_u32_e64 v21, null, s17, v17, vcc_lo
	s_and_saveexec_b32 s16, s5
	s_cbranch_execz .LBB0_304
; %bb.303:                              ;   in Loop: Header=BB0_39 Depth=1
	v_mov_b32_e32 v7, s13
	global_store_dwordx4 v[20:21], v[7:10], off offset:8
.LBB0_304:                              ;   in Loop: Header=BB0_39 Depth=1
	s_or_b32 exec_lo, exec_lo, s16
	s_lshl_b64 s[14:15], s[14:15], 12
	s_mov_b32 s13, s12
	v_add_co_u32 v7, vcc_lo, v18, s14
	v_add_co_ci_u32_e64 v18, null, s15, v19, vcc_lo
	s_mov_b32 s15, s12
	s_mov_b32 s14, s12
	v_and_or_b32 v12, 0xffffff1d, v12, 34
	v_mov_b32_e32 v14, v8
	v_mov_b32_e32 v15, v8
	v_readfirstlane_b32 s16, v7
	v_readfirstlane_b32 s17, v18
	v_mov_b32_e32 v25, s15
	v_mov_b32_e32 v24, s14
	;; [unrolled: 1-line block ×4, first 2 shown]
	global_store_dwordx4 v48, v[12:15], s[16:17]
	global_store_dwordx4 v48, v[22:25], s[16:17] offset:16
	global_store_dwordx4 v48, v[22:25], s[16:17] offset:32
	;; [unrolled: 1-line block ×3, first 2 shown]
	s_and_saveexec_b32 s13, s5
	s_cbranch_execz .LBB0_312
; %bb.305:                              ;   in Loop: Header=BB0_39 Depth=1
	s_clause 0x1
	global_load_dwordx2 v[24:25], v8, s[6:7] offset:32 glc dlc
	global_load_dwordx2 v[12:13], v8, s[6:7] offset:40
	v_mov_b32_e32 v22, s10
	v_mov_b32_e32 v23, s11
	s_waitcnt vmcnt(0)
	v_readfirstlane_b32 s14, v12
	v_readfirstlane_b32 s15, v13
	s_and_b64 s[14:15], s[14:15], s[10:11]
	s_mul_i32 s15, s15, 24
	s_mul_hi_u32 s16, s14, 24
	s_mul_i32 s14, s14, 24
	s_add_i32 s16, s16, s15
	v_add_co_u32 v16, vcc_lo, v16, s14
	v_add_co_ci_u32_e64 v17, null, s16, v17, vcc_lo
	s_mov_b32 s14, exec_lo
	global_store_dwordx2 v[16:17], v[24:25], off
	s_waitcnt_vscnt null, 0x0
	global_atomic_cmpswap_x2 v[14:15], v8, v[22:25], s[6:7] offset:32 glc
	s_waitcnt vmcnt(0)
	v_cmpx_ne_u64_e64 v[14:15], v[24:25]
	s_cbranch_execz .LBB0_308
; %bb.306:                              ;   in Loop: Header=BB0_39 Depth=1
	s_mov_b32 s15, 0
.LBB0_307:                              ;   Parent Loop BB0_39 Depth=1
                                        ; =>  This Inner Loop Header: Depth=2
	v_mov_b32_e32 v12, s10
	v_mov_b32_e32 v13, s11
	s_sleep 1
	global_store_dwordx2 v[16:17], v[14:15], off
	s_waitcnt_vscnt null, 0x0
	global_atomic_cmpswap_x2 v[12:13], v8, v[12:15], s[6:7] offset:32 glc
	s_waitcnt vmcnt(0)
	v_cmp_eq_u64_e32 vcc_lo, v[12:13], v[14:15]
	v_mov_b32_e32 v15, v13
	v_mov_b32_e32 v14, v12
	s_or_b32 s15, vcc_lo, s15
	s_andn2_b32 exec_lo, exec_lo, s15
	s_cbranch_execnz .LBB0_307
.LBB0_308:                              ;   in Loop: Header=BB0_39 Depth=1
	s_or_b32 exec_lo, exec_lo, s14
	global_load_dwordx2 v[12:13], v8, s[6:7] offset:16
	s_mov_b32 s15, exec_lo
	s_mov_b32 s14, exec_lo
	v_mbcnt_lo_u32_b32 v7, s15, 0
	v_cmpx_eq_u32_e32 0, v7
	s_cbranch_execz .LBB0_310
; %bb.309:                              ;   in Loop: Header=BB0_39 Depth=1
	s_bcnt1_i32_b32 s15, s15
	v_mov_b32_e32 v7, s15
	s_waitcnt vmcnt(0)
	global_atomic_add_x2 v[12:13], v[7:8], off offset:8
.LBB0_310:                              ;   in Loop: Header=BB0_39 Depth=1
	s_or_b32 exec_lo, exec_lo, s14
	s_waitcnt vmcnt(0)
	global_load_dwordx2 v[14:15], v[12:13], off offset:16
	s_waitcnt vmcnt(0)
	v_cmp_eq_u64_e32 vcc_lo, 0, v[14:15]
	s_cbranch_vccnz .LBB0_312
; %bb.311:                              ;   in Loop: Header=BB0_39 Depth=1
	global_load_dword v7, v[12:13], off offset:24
	s_waitcnt vmcnt(0)
	v_readfirstlane_b32 s14, v7
	s_waitcnt_vscnt null, 0x0
	global_store_dwordx2 v[14:15], v[7:8], off
	s_and_b32 m0, s14, 0x7fffff
	s_sendmsg sendmsg(MSG_INTERRUPT)
.LBB0_312:                              ;   in Loop: Header=BB0_39 Depth=1
	s_or_b32 exec_lo, exec_lo, s13
	s_branch .LBB0_316
	.p2align	6
.LBB0_313:                              ;   in Loop: Header=BB0_316 Depth=2
	s_or_b32 exec_lo, exec_lo, s13
	v_readfirstlane_b32 s13, v7
	s_cmp_eq_u32 s13, 0
	s_cbranch_scc1 .LBB0_315
; %bb.314:                              ;   in Loop: Header=BB0_316 Depth=2
	s_sleep 1
	s_cbranch_execnz .LBB0_316
	s_branch .LBB0_318
	.p2align	6
.LBB0_315:                              ;   in Loop: Header=BB0_39 Depth=1
	s_branch .LBB0_318
.LBB0_316:                              ;   Parent Loop BB0_39 Depth=1
                                        ; =>  This Inner Loop Header: Depth=2
	v_mov_b32_e32 v7, 1
	s_and_saveexec_b32 s13, s5
	s_cbranch_execz .LBB0_313
; %bb.317:                              ;   in Loop: Header=BB0_316 Depth=2
	global_load_dword v7, v[20:21], off offset:20 glc dlc
	s_waitcnt vmcnt(0)
	buffer_gl1_inv
	buffer_gl0_inv
	v_and_b32_e32 v7, 1, v7
	s_branch .LBB0_313
.LBB0_318:                              ;   in Loop: Header=BB0_39 Depth=1
	s_and_saveexec_b32 s13, s5
	s_cbranch_execz .LBB0_322
; %bb.319:                              ;   in Loop: Header=BB0_39 Depth=1
	s_clause 0x2
	global_load_dwordx2 v[12:13], v8, s[6:7] offset:40
	global_load_dwordx2 v[20:21], v8, s[6:7] offset:24 glc dlc
	global_load_dwordx2 v[14:15], v8, s[6:7]
	s_waitcnt vmcnt(2)
	v_readfirstlane_b32 s14, v12
	v_readfirstlane_b32 s15, v13
	s_add_u32 s5, s14, 1
	s_addc_u32 s16, s15, 0
	s_add_u32 s10, s5, s10
	s_addc_u32 s11, s16, s11
	s_cmp_eq_u64 s[10:11], 0
	s_cselect_b32 s11, s16, s11
	s_cselect_b32 s10, s5, s10
	v_mov_b32_e32 v19, s11
	s_and_b64 s[14:15], s[10:11], s[14:15]
	v_mov_b32_e32 v18, s10
	s_mul_i32 s5, s15, 24
	s_mul_hi_u32 s15, s14, 24
	s_mul_i32 s14, s14, 24
	s_add_i32 s15, s15, s5
	s_waitcnt vmcnt(0)
	v_add_co_u32 v16, vcc_lo, v14, s14
	v_add_co_ci_u32_e64 v17, null, s15, v15, vcc_lo
	global_store_dwordx2 v[16:17], v[20:21], off
	s_waitcnt_vscnt null, 0x0
	global_atomic_cmpswap_x2 v[14:15], v8, v[18:21], s[6:7] offset:24 glc
	s_waitcnt vmcnt(0)
	v_cmp_ne_u64_e32 vcc_lo, v[14:15], v[20:21]
	s_and_b32 exec_lo, exec_lo, vcc_lo
	s_cbranch_execz .LBB0_322
; %bb.320:                              ;   in Loop: Header=BB0_39 Depth=1
	s_mov_b32 s5, 0
.LBB0_321:                              ;   Parent Loop BB0_39 Depth=1
                                        ; =>  This Inner Loop Header: Depth=2
	v_mov_b32_e32 v12, s10
	v_mov_b32_e32 v13, s11
	s_sleep 1
	global_store_dwordx2 v[16:17], v[14:15], off
	s_waitcnt_vscnt null, 0x0
	global_atomic_cmpswap_x2 v[12:13], v8, v[12:15], s[6:7] offset:24 glc
	s_waitcnt vmcnt(0)
	v_cmp_eq_u64_e32 vcc_lo, v[12:13], v[14:15]
	v_mov_b32_e32 v15, v13
	v_mov_b32_e32 v14, v12
	s_or_b32 s5, vcc_lo, s5
	s_andn2_b32 exec_lo, exec_lo, s5
	s_cbranch_execnz .LBB0_321
.LBB0_322:                              ;   in Loop: Header=BB0_39 Depth=1
	s_or_b32 exec_lo, exec_lo, s13
.LBB0_323:                              ;   in Loop: Header=BB0_39 Depth=1
	v_readfirstlane_b32 s5, v37
	s_waitcnt vmcnt(0)
	v_mov_b32_e32 v12, 0
	v_mov_b32_e32 v13, 0
	v_cmp_eq_u32_e64 s5, s5, v37
	s_and_saveexec_b32 s10, s5
	s_cbranch_execz .LBB0_329
; %bb.324:                              ;   in Loop: Header=BB0_39 Depth=1
	global_load_dwordx2 v[14:15], v8, s[6:7] offset:24 glc dlc
	s_waitcnt vmcnt(0)
	buffer_gl1_inv
	buffer_gl0_inv
	s_clause 0x1
	global_load_dwordx2 v[12:13], v8, s[6:7] offset:40
	global_load_dwordx2 v[16:17], v8, s[6:7]
	s_mov_b32 s11, exec_lo
	s_waitcnt vmcnt(1)
	v_and_b32_e32 v7, v13, v15
	v_and_b32_e32 v12, v12, v14
	v_mul_lo_u32 v7, v7, 24
	v_mul_hi_u32 v13, v12, 24
	v_mul_lo_u32 v12, v12, 24
	v_add_nc_u32_e32 v7, v13, v7
	s_waitcnt vmcnt(0)
	v_add_co_u32 v12, vcc_lo, v16, v12
	v_add_co_ci_u32_e64 v13, null, v17, v7, vcc_lo
	global_load_dwordx2 v[12:13], v[12:13], off glc dlc
	s_waitcnt vmcnt(0)
	global_atomic_cmpswap_x2 v[12:13], v8, v[12:15], s[6:7] offset:24 glc
	s_waitcnt vmcnt(0)
	buffer_gl1_inv
	buffer_gl0_inv
	v_cmpx_ne_u64_e64 v[12:13], v[14:15]
	s_cbranch_execz .LBB0_328
; %bb.325:                              ;   in Loop: Header=BB0_39 Depth=1
	s_mov_b32 s13, 0
	.p2align	6
.LBB0_326:                              ;   Parent Loop BB0_39 Depth=1
                                        ; =>  This Inner Loop Header: Depth=2
	s_sleep 1
	s_clause 0x1
	global_load_dwordx2 v[16:17], v8, s[6:7] offset:40
	global_load_dwordx2 v[18:19], v8, s[6:7]
	v_mov_b32_e32 v15, v13
	v_mov_b32_e32 v14, v12
	s_waitcnt vmcnt(1)
	v_and_b32_e32 v7, v16, v14
	v_and_b32_e32 v16, v17, v15
	s_waitcnt vmcnt(0)
	v_mad_u64_u32 v[12:13], null, v7, 24, v[18:19]
	v_mov_b32_e32 v7, v13
	v_mad_u64_u32 v[16:17], null, v16, 24, v[7:8]
	v_mov_b32_e32 v13, v16
	global_load_dwordx2 v[12:13], v[12:13], off glc dlc
	s_waitcnt vmcnt(0)
	global_atomic_cmpswap_x2 v[12:13], v8, v[12:15], s[6:7] offset:24 glc
	s_waitcnt vmcnt(0)
	buffer_gl1_inv
	buffer_gl0_inv
	v_cmp_eq_u64_e32 vcc_lo, v[12:13], v[14:15]
	s_or_b32 s13, vcc_lo, s13
	s_andn2_b32 exec_lo, exec_lo, s13
	s_cbranch_execnz .LBB0_326
; %bb.327:                              ;   in Loop: Header=BB0_39 Depth=1
	s_or_b32 exec_lo, exec_lo, s13
.LBB0_328:                              ;   in Loop: Header=BB0_39 Depth=1
	s_or_b32 exec_lo, exec_lo, s11
.LBB0_329:                              ;   in Loop: Header=BB0_39 Depth=1
	s_or_b32 exec_lo, exec_lo, s10
	s_clause 0x1
	global_load_dwordx2 v[19:20], v8, s[6:7] offset:40
	global_load_dwordx4 v[15:18], v8, s[6:7]
	v_readfirstlane_b32 s11, v13
	v_readfirstlane_b32 s10, v12
	s_mov_b32 s13, exec_lo
	s_waitcnt vmcnt(1)
	v_readfirstlane_b32 s14, v19
	v_readfirstlane_b32 s15, v20
	s_and_b64 s[14:15], s[14:15], s[10:11]
	s_mul_i32 s16, s15, 24
	s_mul_hi_u32 s17, s14, 24
	s_mul_i32 s18, s14, 24
	s_add_i32 s17, s17, s16
	s_waitcnt vmcnt(0)
	v_add_co_u32 v19, vcc_lo, v15, s18
	v_add_co_ci_u32_e64 v20, null, s17, v16, vcc_lo
	s_and_saveexec_b32 s16, s5
	s_cbranch_execz .LBB0_331
; %bb.330:                              ;   in Loop: Header=BB0_39 Depth=1
	v_mov_b32_e32 v7, s13
	global_store_dwordx4 v[19:20], v[7:10], off offset:8
.LBB0_331:                              ;   in Loop: Header=BB0_39 Depth=1
	s_or_b32 exec_lo, exec_lo, s16
	s_lshl_b64 s[14:15], s[14:15], 12
	s_mov_b32 s13, s12
	v_add_co_u32 v21, vcc_lo, v17, s14
	v_add_co_ci_u32_e64 v22, null, s15, v18, vcc_lo
	s_mov_b32 s15, s12
	s_mov_b32 s14, s12
	v_mov_b32_e32 v12, v8
	v_mov_b32_e32 v13, v8
	;; [unrolled: 1-line block ×3, first 2 shown]
	v_readfirstlane_b32 s16, v21
	v_readfirstlane_b32 s17, v22
	v_mov_b32_e32 v26, s15
	v_mov_b32_e32 v25, s14
	v_mov_b32_e32 v24, s13
	v_mov_b32_e32 v23, s12
	global_store_dwordx4 v48, v[11:14], s[16:17]
	global_store_dwordx4 v48, v[23:26], s[16:17] offset:16
	global_store_dwordx4 v48, v[23:26], s[16:17] offset:32
	;; [unrolled: 1-line block ×3, first 2 shown]
	s_and_saveexec_b32 s13, s5
	s_cbranch_execz .LBB0_339
; %bb.332:                              ;   in Loop: Header=BB0_39 Depth=1
	s_clause 0x1
	global_load_dwordx2 v[25:26], v8, s[6:7] offset:32 glc dlc
	global_load_dwordx2 v[12:13], v8, s[6:7] offset:40
	v_mov_b32_e32 v23, s10
	v_mov_b32_e32 v24, s11
	s_waitcnt vmcnt(0)
	v_readfirstlane_b32 s14, v12
	v_readfirstlane_b32 s15, v13
	s_and_b64 s[14:15], s[14:15], s[10:11]
	s_mul_i32 s15, s15, 24
	s_mul_hi_u32 s16, s14, 24
	s_mul_i32 s14, s14, 24
	s_add_i32 s16, s16, s15
	v_add_co_u32 v17, vcc_lo, v15, s14
	v_add_co_ci_u32_e64 v18, null, s16, v16, vcc_lo
	s_mov_b32 s14, exec_lo
	global_store_dwordx2 v[17:18], v[25:26], off
	s_waitcnt_vscnt null, 0x0
	global_atomic_cmpswap_x2 v[14:15], v8, v[23:26], s[6:7] offset:32 glc
	s_waitcnt vmcnt(0)
	v_cmpx_ne_u64_e64 v[14:15], v[25:26]
	s_cbranch_execz .LBB0_335
; %bb.333:                              ;   in Loop: Header=BB0_39 Depth=1
	s_mov_b32 s15, 0
.LBB0_334:                              ;   Parent Loop BB0_39 Depth=1
                                        ; =>  This Inner Loop Header: Depth=2
	v_mov_b32_e32 v12, s10
	v_mov_b32_e32 v13, s11
	s_sleep 1
	global_store_dwordx2 v[17:18], v[14:15], off
	s_waitcnt_vscnt null, 0x0
	global_atomic_cmpswap_x2 v[12:13], v8, v[12:15], s[6:7] offset:32 glc
	s_waitcnt vmcnt(0)
	v_cmp_eq_u64_e32 vcc_lo, v[12:13], v[14:15]
	v_mov_b32_e32 v15, v13
	v_mov_b32_e32 v14, v12
	s_or_b32 s15, vcc_lo, s15
	s_andn2_b32 exec_lo, exec_lo, s15
	s_cbranch_execnz .LBB0_334
.LBB0_335:                              ;   in Loop: Header=BB0_39 Depth=1
	s_or_b32 exec_lo, exec_lo, s14
	global_load_dwordx2 v[12:13], v8, s[6:7] offset:16
	s_mov_b32 s15, exec_lo
	s_mov_b32 s14, exec_lo
	v_mbcnt_lo_u32_b32 v7, s15, 0
	v_cmpx_eq_u32_e32 0, v7
	s_cbranch_execz .LBB0_337
; %bb.336:                              ;   in Loop: Header=BB0_39 Depth=1
	s_bcnt1_i32_b32 s15, s15
	v_mov_b32_e32 v7, s15
	s_waitcnt vmcnt(0)
	global_atomic_add_x2 v[12:13], v[7:8], off offset:8
.LBB0_337:                              ;   in Loop: Header=BB0_39 Depth=1
	s_or_b32 exec_lo, exec_lo, s14
	s_waitcnt vmcnt(0)
	global_load_dwordx2 v[14:15], v[12:13], off offset:16
	s_waitcnt vmcnt(0)
	v_cmp_eq_u64_e32 vcc_lo, 0, v[14:15]
	s_cbranch_vccnz .LBB0_339
; %bb.338:                              ;   in Loop: Header=BB0_39 Depth=1
	global_load_dword v7, v[12:13], off offset:24
	s_waitcnt vmcnt(0)
	v_readfirstlane_b32 s14, v7
	s_waitcnt_vscnt null, 0x0
	global_store_dwordx2 v[14:15], v[7:8], off
	s_and_b32 m0, s14, 0x7fffff
	s_sendmsg sendmsg(MSG_INTERRUPT)
.LBB0_339:                              ;   in Loop: Header=BB0_39 Depth=1
	s_or_b32 exec_lo, exec_lo, s13
	v_add_co_u32 v12, vcc_lo, v21, v48
	v_add_co_ci_u32_e64 v13, null, 0, v22, vcc_lo
	s_branch .LBB0_343
	.p2align	6
.LBB0_340:                              ;   in Loop: Header=BB0_343 Depth=2
	s_or_b32 exec_lo, exec_lo, s13
	v_readfirstlane_b32 s13, v7
	s_cmp_eq_u32 s13, 0
	s_cbranch_scc1 .LBB0_342
; %bb.341:                              ;   in Loop: Header=BB0_343 Depth=2
	s_sleep 1
	s_cbranch_execnz .LBB0_343
	s_branch .LBB0_345
	.p2align	6
.LBB0_342:                              ;   in Loop: Header=BB0_39 Depth=1
	s_branch .LBB0_345
.LBB0_343:                              ;   Parent Loop BB0_39 Depth=1
                                        ; =>  This Inner Loop Header: Depth=2
	v_mov_b32_e32 v7, 1
	s_and_saveexec_b32 s13, s5
	s_cbranch_execz .LBB0_340
; %bb.344:                              ;   in Loop: Header=BB0_343 Depth=2
	global_load_dword v7, v[19:20], off offset:20 glc dlc
	s_waitcnt vmcnt(0)
	buffer_gl1_inv
	buffer_gl0_inv
	v_and_b32_e32 v7, 1, v7
	s_branch .LBB0_340
.LBB0_345:                              ;   in Loop: Header=BB0_39 Depth=1
	global_load_dwordx2 v[12:13], v[12:13], off
	s_and_saveexec_b32 s13, s5
	s_cbranch_execz .LBB0_349
; %bb.346:                              ;   in Loop: Header=BB0_39 Depth=1
	s_clause 0x2
	global_load_dwordx2 v[14:15], v8, s[6:7] offset:40
	global_load_dwordx2 v[22:23], v8, s[6:7] offset:24 glc dlc
	global_load_dwordx2 v[16:17], v8, s[6:7]
	s_waitcnt vmcnt(2)
	v_readfirstlane_b32 s14, v14
	v_readfirstlane_b32 s15, v15
	s_add_u32 s5, s14, 1
	s_addc_u32 s16, s15, 0
	s_add_u32 s10, s5, s10
	s_addc_u32 s11, s16, s11
	s_cmp_eq_u64 s[10:11], 0
	s_cselect_b32 s11, s16, s11
	s_cselect_b32 s10, s5, s10
	v_mov_b32_e32 v21, s11
	s_and_b64 s[14:15], s[10:11], s[14:15]
	v_mov_b32_e32 v20, s10
	s_mul_i32 s5, s15, 24
	s_mul_hi_u32 s15, s14, 24
	s_mul_i32 s14, s14, 24
	s_add_i32 s15, s15, s5
	s_waitcnt vmcnt(0)
	v_add_co_u32 v18, vcc_lo, v16, s14
	v_add_co_ci_u32_e64 v19, null, s15, v17, vcc_lo
	global_store_dwordx2 v[18:19], v[22:23], off
	s_waitcnt_vscnt null, 0x0
	global_atomic_cmpswap_x2 v[16:17], v8, v[20:23], s[6:7] offset:24 glc
	s_waitcnt vmcnt(0)
	v_cmp_ne_u64_e32 vcc_lo, v[16:17], v[22:23]
	s_and_b32 exec_lo, exec_lo, vcc_lo
	s_cbranch_execz .LBB0_349
; %bb.347:                              ;   in Loop: Header=BB0_39 Depth=1
	s_mov_b32 s5, 0
.LBB0_348:                              ;   Parent Loop BB0_39 Depth=1
                                        ; =>  This Inner Loop Header: Depth=2
	v_mov_b32_e32 v14, s10
	v_mov_b32_e32 v15, s11
	s_sleep 1
	global_store_dwordx2 v[18:19], v[16:17], off
	s_waitcnt_vscnt null, 0x0
	global_atomic_cmpswap_x2 v[14:15], v8, v[14:17], s[6:7] offset:24 glc
	s_waitcnt vmcnt(0)
	v_cmp_eq_u64_e32 vcc_lo, v[14:15], v[16:17]
	v_mov_b32_e32 v17, v15
	v_mov_b32_e32 v16, v14
	s_or_b32 s5, vcc_lo, s5
	s_andn2_b32 exec_lo, exec_lo, s5
	s_cbranch_execnz .LBB0_348
.LBB0_349:                              ;   in Loop: Header=BB0_39 Depth=1
	s_or_b32 exec_lo, exec_lo, s13
	s_and_b32 vcc_lo, exec_lo, s24
	s_cbranch_vccz .LBB0_428
; %bb.350:                              ;   in Loop: Header=BB0_39 Depth=1
	s_waitcnt vmcnt(0)
	v_and_b32_e32 v14, -3, v12
	v_mov_b32_e32 v15, v13
	s_mov_b64 s[14:15], 39
	s_getpc_b64 s[10:11]
	s_add_u32 s10, s10, .str.2@rel32@lo+4
	s_addc_u32 s11, s11, .str.2@rel32@hi+12
	s_branch .LBB0_352
.LBB0_351:                              ;   in Loop: Header=BB0_352 Depth=2
	s_or_b32 exec_lo, exec_lo, s13
	s_sub_u32 s14, s14, s16
	s_subb_u32 s15, s15, s17
	s_add_u32 s10, s10, s16
	s_addc_u32 s11, s11, s17
	s_cmp_eq_u64 s[14:15], 0
	s_cbranch_scc1 .LBB0_427
.LBB0_352:                              ;   Parent Loop BB0_39 Depth=1
                                        ; =>  This Loop Header: Depth=2
                                        ;       Child Loop BB0_355 Depth 3
                                        ;       Child Loop BB0_362 Depth 3
	;; [unrolled: 1-line block ×11, first 2 shown]
	v_cmp_lt_u64_e64 s5, s[14:15], 56
	v_cmp_gt_u64_e64 s13, s[14:15], 7
	s_and_b32 s5, s5, exec_lo
	s_cselect_b32 s17, s15, 0
	s_cselect_b32 s16, s14, 56
	s_add_u32 s18, s10, 8
	s_addc_u32 s19, s11, 0
	s_and_b32 vcc_lo, exec_lo, s13
	s_cbranch_vccnz .LBB0_357
; %bb.353:                              ;   in Loop: Header=BB0_352 Depth=2
	s_waitcnt vmcnt(0)
	v_mov_b32_e32 v16, 0
	v_mov_b32_e32 v17, 0
	s_cmp_eq_u64 s[14:15], 0
	s_cbranch_scc1 .LBB0_356
; %bb.354:                              ;   in Loop: Header=BB0_352 Depth=2
	s_lshl_b64 s[18:19], s[16:17], 3
	s_mov_b64 s[20:21], 0
	s_mov_b64 s[22:23], s[10:11]
.LBB0_355:                              ;   Parent Loop BB0_39 Depth=1
                                        ;     Parent Loop BB0_352 Depth=2
                                        ; =>    This Inner Loop Header: Depth=3
	global_load_ubyte v7, v8, s[22:23]
	s_waitcnt vmcnt(0)
	v_and_b32_e32 v7, 0xffff, v7
	v_lshlrev_b64 v[18:19], s20, v[7:8]
	s_add_u32 s20, s20, 8
	s_addc_u32 s21, s21, 0
	s_add_u32 s22, s22, 1
	s_addc_u32 s23, s23, 0
	s_cmp_lg_u32 s18, s20
	v_or_b32_e32 v16, v18, v16
	v_or_b32_e32 v17, v19, v17
	s_cbranch_scc1 .LBB0_355
.LBB0_356:                              ;   in Loop: Header=BB0_352 Depth=2
	s_mov_b64 s[18:19], s[10:11]
	s_mov_b32 s5, 0
	s_cbranch_execz .LBB0_358
	s_branch .LBB0_359
.LBB0_357:                              ;   in Loop: Header=BB0_352 Depth=2
	s_mov_b32 s5, 0
.LBB0_358:                              ;   in Loop: Header=BB0_352 Depth=2
	global_load_dwordx2 v[16:17], v8, s[10:11]
	s_add_i32 s5, s16, -8
.LBB0_359:                              ;   in Loop: Header=BB0_352 Depth=2
	s_add_u32 s20, s18, 8
	s_addc_u32 s21, s19, 0
	s_cmp_gt_u32 s5, 7
	s_cbranch_scc1 .LBB0_364
; %bb.360:                              ;   in Loop: Header=BB0_352 Depth=2
	v_mov_b32_e32 v18, 0
	v_mov_b32_e32 v19, 0
	s_cmp_eq_u32 s5, 0
	s_cbranch_scc1 .LBB0_363
; %bb.361:                              ;   in Loop: Header=BB0_352 Depth=2
	s_mov_b64 s[20:21], 0
	s_mov_b64 s[22:23], 0
.LBB0_362:                              ;   Parent Loop BB0_39 Depth=1
                                        ;     Parent Loop BB0_352 Depth=2
                                        ; =>    This Inner Loop Header: Depth=3
	s_add_u32 s28, s18, s22
	s_addc_u32 s29, s19, s23
	s_add_u32 s22, s22, 1
	global_load_ubyte v7, v8, s[28:29]
	s_addc_u32 s23, s23, 0
	s_waitcnt vmcnt(0)
	v_and_b32_e32 v7, 0xffff, v7
	v_lshlrev_b64 v[20:21], s20, v[7:8]
	s_add_u32 s20, s20, 8
	s_addc_u32 s21, s21, 0
	s_cmp_lg_u32 s5, s22
	v_or_b32_e32 v18, v20, v18
	v_or_b32_e32 v19, v21, v19
	s_cbranch_scc1 .LBB0_362
.LBB0_363:                              ;   in Loop: Header=BB0_352 Depth=2
	s_mov_b64 s[20:21], s[18:19]
	s_mov_b32 s13, 0
	s_cbranch_execz .LBB0_365
	s_branch .LBB0_366
.LBB0_364:                              ;   in Loop: Header=BB0_352 Depth=2
                                        ; implicit-def: $vgpr18_vgpr19
	s_mov_b32 s13, 0
.LBB0_365:                              ;   in Loop: Header=BB0_352 Depth=2
	global_load_dwordx2 v[18:19], v8, s[18:19]
	s_add_i32 s13, s5, -8
.LBB0_366:                              ;   in Loop: Header=BB0_352 Depth=2
	s_add_u32 s18, s20, 8
	s_addc_u32 s19, s21, 0
	s_cmp_gt_u32 s13, 7
	s_cbranch_scc1 .LBB0_371
; %bb.367:                              ;   in Loop: Header=BB0_352 Depth=2
	v_mov_b32_e32 v20, 0
	v_mov_b32_e32 v21, 0
	s_cmp_eq_u32 s13, 0
	s_cbranch_scc1 .LBB0_370
; %bb.368:                              ;   in Loop: Header=BB0_352 Depth=2
	s_mov_b64 s[18:19], 0
	s_mov_b64 s[22:23], 0
.LBB0_369:                              ;   Parent Loop BB0_39 Depth=1
                                        ;     Parent Loop BB0_352 Depth=2
                                        ; =>    This Inner Loop Header: Depth=3
	s_add_u32 s28, s20, s22
	s_addc_u32 s29, s21, s23
	s_add_u32 s22, s22, 1
	global_load_ubyte v7, v8, s[28:29]
	s_addc_u32 s23, s23, 0
	s_waitcnt vmcnt(0)
	v_and_b32_e32 v7, 0xffff, v7
	v_lshlrev_b64 v[22:23], s18, v[7:8]
	s_add_u32 s18, s18, 8
	s_addc_u32 s19, s19, 0
	s_cmp_lg_u32 s13, s22
	v_or_b32_e32 v20, v22, v20
	v_or_b32_e32 v21, v23, v21
	s_cbranch_scc1 .LBB0_369
.LBB0_370:                              ;   in Loop: Header=BB0_352 Depth=2
	s_mov_b64 s[18:19], s[20:21]
	s_mov_b32 s5, 0
	s_cbranch_execz .LBB0_372
	s_branch .LBB0_373
.LBB0_371:                              ;   in Loop: Header=BB0_352 Depth=2
	s_mov_b32 s5, 0
.LBB0_372:                              ;   in Loop: Header=BB0_352 Depth=2
	global_load_dwordx2 v[20:21], v8, s[20:21]
	s_add_i32 s5, s13, -8
.LBB0_373:                              ;   in Loop: Header=BB0_352 Depth=2
	s_add_u32 s20, s18, 8
	s_addc_u32 s21, s19, 0
	s_cmp_gt_u32 s5, 7
	s_cbranch_scc1 .LBB0_378
; %bb.374:                              ;   in Loop: Header=BB0_352 Depth=2
	v_mov_b32_e32 v22, 0
	v_mov_b32_e32 v23, 0
	s_cmp_eq_u32 s5, 0
	s_cbranch_scc1 .LBB0_377
; %bb.375:                              ;   in Loop: Header=BB0_352 Depth=2
	s_mov_b64 s[20:21], 0
	s_mov_b64 s[22:23], 0
.LBB0_376:                              ;   Parent Loop BB0_39 Depth=1
                                        ;     Parent Loop BB0_352 Depth=2
                                        ; =>    This Inner Loop Header: Depth=3
	s_add_u32 s28, s18, s22
	s_addc_u32 s29, s19, s23
	s_add_u32 s22, s22, 1
	global_load_ubyte v7, v8, s[28:29]
	s_addc_u32 s23, s23, 0
	s_waitcnt vmcnt(0)
	v_and_b32_e32 v7, 0xffff, v7
	v_lshlrev_b64 v[24:25], s20, v[7:8]
	s_add_u32 s20, s20, 8
	s_addc_u32 s21, s21, 0
	s_cmp_lg_u32 s5, s22
	v_or_b32_e32 v22, v24, v22
	v_or_b32_e32 v23, v25, v23
	s_cbranch_scc1 .LBB0_376
.LBB0_377:                              ;   in Loop: Header=BB0_352 Depth=2
	s_mov_b64 s[20:21], s[18:19]
	s_mov_b32 s13, 0
	s_cbranch_execz .LBB0_379
	s_branch .LBB0_380
.LBB0_378:                              ;   in Loop: Header=BB0_352 Depth=2
                                        ; implicit-def: $vgpr22_vgpr23
	s_mov_b32 s13, 0
.LBB0_379:                              ;   in Loop: Header=BB0_352 Depth=2
	global_load_dwordx2 v[22:23], v8, s[18:19]
	s_add_i32 s13, s5, -8
.LBB0_380:                              ;   in Loop: Header=BB0_352 Depth=2
	s_add_u32 s18, s20, 8
	s_addc_u32 s19, s21, 0
	s_cmp_gt_u32 s13, 7
	s_cbranch_scc1 .LBB0_385
; %bb.381:                              ;   in Loop: Header=BB0_352 Depth=2
	v_mov_b32_e32 v24, 0
	v_mov_b32_e32 v25, 0
	s_cmp_eq_u32 s13, 0
	s_cbranch_scc1 .LBB0_384
; %bb.382:                              ;   in Loop: Header=BB0_352 Depth=2
	s_mov_b64 s[18:19], 0
	s_mov_b64 s[22:23], 0
.LBB0_383:                              ;   Parent Loop BB0_39 Depth=1
                                        ;     Parent Loop BB0_352 Depth=2
                                        ; =>    This Inner Loop Header: Depth=3
	s_add_u32 s28, s20, s22
	s_addc_u32 s29, s21, s23
	s_add_u32 s22, s22, 1
	global_load_ubyte v7, v8, s[28:29]
	s_addc_u32 s23, s23, 0
	s_waitcnt vmcnt(0)
	v_and_b32_e32 v7, 0xffff, v7
	v_lshlrev_b64 v[26:27], s18, v[7:8]
	s_add_u32 s18, s18, 8
	s_addc_u32 s19, s19, 0
	s_cmp_lg_u32 s13, s22
	v_or_b32_e32 v24, v26, v24
	v_or_b32_e32 v25, v27, v25
	s_cbranch_scc1 .LBB0_383
.LBB0_384:                              ;   in Loop: Header=BB0_352 Depth=2
	s_mov_b64 s[18:19], s[20:21]
	s_mov_b32 s5, 0
	s_cbranch_execz .LBB0_386
	s_branch .LBB0_387
.LBB0_385:                              ;   in Loop: Header=BB0_352 Depth=2
	s_mov_b32 s5, 0
.LBB0_386:                              ;   in Loop: Header=BB0_352 Depth=2
	global_load_dwordx2 v[24:25], v8, s[20:21]
	s_add_i32 s5, s13, -8
.LBB0_387:                              ;   in Loop: Header=BB0_352 Depth=2
	s_add_u32 s20, s18, 8
	s_addc_u32 s21, s19, 0
	s_cmp_gt_u32 s5, 7
	s_cbranch_scc1 .LBB0_392
; %bb.388:                              ;   in Loop: Header=BB0_352 Depth=2
	v_mov_b32_e32 v26, 0
	v_mov_b32_e32 v27, 0
	s_cmp_eq_u32 s5, 0
	s_cbranch_scc1 .LBB0_391
; %bb.389:                              ;   in Loop: Header=BB0_352 Depth=2
	s_mov_b64 s[20:21], 0
	s_mov_b64 s[22:23], 0
.LBB0_390:                              ;   Parent Loop BB0_39 Depth=1
                                        ;     Parent Loop BB0_352 Depth=2
                                        ; =>    This Inner Loop Header: Depth=3
	s_add_u32 s28, s18, s22
	s_addc_u32 s29, s19, s23
	s_add_u32 s22, s22, 1
	global_load_ubyte v7, v8, s[28:29]
	s_addc_u32 s23, s23, 0
	s_waitcnt vmcnt(0)
	v_and_b32_e32 v7, 0xffff, v7
	v_lshlrev_b64 v[28:29], s20, v[7:8]
	s_add_u32 s20, s20, 8
	s_addc_u32 s21, s21, 0
	s_cmp_lg_u32 s5, s22
	v_or_b32_e32 v26, v28, v26
	v_or_b32_e32 v27, v29, v27
	s_cbranch_scc1 .LBB0_390
.LBB0_391:                              ;   in Loop: Header=BB0_352 Depth=2
	s_mov_b64 s[20:21], s[18:19]
	s_mov_b32 s13, 0
	s_cbranch_execz .LBB0_393
	s_branch .LBB0_394
.LBB0_392:                              ;   in Loop: Header=BB0_352 Depth=2
                                        ; implicit-def: $vgpr26_vgpr27
	s_mov_b32 s13, 0
.LBB0_393:                              ;   in Loop: Header=BB0_352 Depth=2
	global_load_dwordx2 v[26:27], v8, s[18:19]
	s_add_i32 s13, s5, -8
.LBB0_394:                              ;   in Loop: Header=BB0_352 Depth=2
	s_cmp_gt_u32 s13, 7
	s_cbranch_scc1 .LBB0_399
; %bb.395:                              ;   in Loop: Header=BB0_352 Depth=2
	v_mov_b32_e32 v28, 0
	v_mov_b32_e32 v29, 0
	s_cmp_eq_u32 s13, 0
	s_cbranch_scc1 .LBB0_398
; %bb.396:                              ;   in Loop: Header=BB0_352 Depth=2
	s_mov_b64 s[18:19], 0
	s_mov_b64 s[22:23], s[20:21]
.LBB0_397:                              ;   Parent Loop BB0_39 Depth=1
                                        ;     Parent Loop BB0_352 Depth=2
                                        ; =>    This Inner Loop Header: Depth=3
	global_load_ubyte v7, v8, s[22:23]
	s_add_i32 s13, s13, -1
	s_waitcnt vmcnt(0)
	v_and_b32_e32 v7, 0xffff, v7
	v_lshlrev_b64 v[30:31], s18, v[7:8]
	s_add_u32 s18, s18, 8
	s_addc_u32 s19, s19, 0
	s_add_u32 s22, s22, 1
	s_addc_u32 s23, s23, 0
	s_cmp_lg_u32 s13, 0
	v_or_b32_e32 v28, v30, v28
	v_or_b32_e32 v29, v31, v29
	s_cbranch_scc1 .LBB0_397
.LBB0_398:                              ;   in Loop: Header=BB0_352 Depth=2
	s_cbranch_execz .LBB0_400
	s_branch .LBB0_401
.LBB0_399:                              ;   in Loop: Header=BB0_352 Depth=2
.LBB0_400:                              ;   in Loop: Header=BB0_352 Depth=2
	global_load_dwordx2 v[28:29], v8, s[20:21]
.LBB0_401:                              ;   in Loop: Header=BB0_352 Depth=2
	v_readfirstlane_b32 s5, v37
	v_mov_b32_e32 v34, 0
	v_mov_b32_e32 v35, 0
	v_cmp_eq_u32_e64 s5, s5, v37
	s_and_saveexec_b32 s13, s5
	s_cbranch_execz .LBB0_407
; %bb.402:                              ;   in Loop: Header=BB0_352 Depth=2
	global_load_dwordx2 v[32:33], v8, s[6:7] offset:24 glc dlc
	s_waitcnt vmcnt(0)
	buffer_gl1_inv
	buffer_gl0_inv
	s_clause 0x1
	global_load_dwordx2 v[30:31], v8, s[6:7] offset:40
	global_load_dwordx2 v[34:35], v8, s[6:7]
	s_mov_b32 s18, exec_lo
	s_waitcnt vmcnt(1)
	v_and_b32_e32 v7, v31, v33
	v_and_b32_e32 v30, v30, v32
	v_mul_lo_u32 v7, v7, 24
	v_mul_hi_u32 v31, v30, 24
	v_mul_lo_u32 v30, v30, 24
	v_add_nc_u32_e32 v7, v31, v7
	s_waitcnt vmcnt(0)
	v_add_co_u32 v30, vcc_lo, v34, v30
	v_add_co_ci_u32_e64 v31, null, v35, v7, vcc_lo
	global_load_dwordx2 v[30:31], v[30:31], off glc dlc
	s_waitcnt vmcnt(0)
	global_atomic_cmpswap_x2 v[34:35], v8, v[30:33], s[6:7] offset:24 glc
	s_waitcnt vmcnt(0)
	buffer_gl1_inv
	buffer_gl0_inv
	v_cmpx_ne_u64_e64 v[34:35], v[32:33]
	s_cbranch_execz .LBB0_406
; %bb.403:                              ;   in Loop: Header=BB0_352 Depth=2
	s_mov_b32 s19, 0
	.p2align	6
.LBB0_404:                              ;   Parent Loop BB0_39 Depth=1
                                        ;     Parent Loop BB0_352 Depth=2
                                        ; =>    This Inner Loop Header: Depth=3
	s_sleep 1
	s_clause 0x1
	global_load_dwordx2 v[30:31], v8, s[6:7] offset:40
	global_load_dwordx2 v[49:50], v8, s[6:7]
	v_mov_b32_e32 v32, v34
	v_mov_b32_e32 v33, v35
	s_waitcnt vmcnt(1)
	v_and_b32_e32 v7, v30, v32
	v_and_b32_e32 v30, v31, v33
	s_waitcnt vmcnt(0)
	v_mad_u64_u32 v[34:35], null, v7, 24, v[49:50]
	v_mov_b32_e32 v7, v35
	v_mad_u64_u32 v[30:31], null, v30, 24, v[7:8]
	v_mov_b32_e32 v35, v30
	global_load_dwordx2 v[30:31], v[34:35], off glc dlc
	s_waitcnt vmcnt(0)
	global_atomic_cmpswap_x2 v[34:35], v8, v[30:33], s[6:7] offset:24 glc
	s_waitcnt vmcnt(0)
	buffer_gl1_inv
	buffer_gl0_inv
	v_cmp_eq_u64_e32 vcc_lo, v[34:35], v[32:33]
	s_or_b32 s19, vcc_lo, s19
	s_andn2_b32 exec_lo, exec_lo, s19
	s_cbranch_execnz .LBB0_404
; %bb.405:                              ;   in Loop: Header=BB0_352 Depth=2
	s_or_b32 exec_lo, exec_lo, s19
.LBB0_406:                              ;   in Loop: Header=BB0_352 Depth=2
	s_or_b32 exec_lo, exec_lo, s18
.LBB0_407:                              ;   in Loop: Header=BB0_352 Depth=2
	s_or_b32 exec_lo, exec_lo, s13
	s_clause 0x1
	global_load_dwordx2 v[49:50], v8, s[6:7] offset:40
	global_load_dwordx4 v[30:33], v8, s[6:7]
	v_readfirstlane_b32 s19, v35
	v_readfirstlane_b32 s18, v34
	s_mov_b32 s13, exec_lo
	s_waitcnt vmcnt(1)
	v_readfirstlane_b32 s20, v49
	v_readfirstlane_b32 s21, v50
	s_and_b64 s[20:21], s[20:21], s[18:19]
	s_mul_i32 s22, s21, 24
	s_mul_hi_u32 s23, s20, 24
	s_mul_i32 s27, s20, 24
	s_add_i32 s23, s23, s22
	s_waitcnt vmcnt(0)
	v_add_co_u32 v34, vcc_lo, v30, s27
	v_add_co_ci_u32_e64 v35, null, s23, v31, vcc_lo
	s_and_saveexec_b32 s22, s5
	s_cbranch_execz .LBB0_409
; %bb.408:                              ;   in Loop: Header=BB0_352 Depth=2
	v_mov_b32_e32 v7, s13
	global_store_dwordx4 v[34:35], v[7:10], off offset:8
.LBB0_409:                              ;   in Loop: Header=BB0_352 Depth=2
	s_or_b32 exec_lo, exec_lo, s22
	v_cmp_gt_u64_e64 s13, s[14:15], 56
	s_lshl_b64 s[20:21], s[20:21], 12
	v_and_b32_e32 v7, 0xffffff1f, v14
	v_add_co_u32 v32, vcc_lo, v32, s20
	v_add_co_ci_u32_e64 v33, null, s21, v33, vcc_lo
	s_and_b32 s13, s13, exec_lo
	s_cselect_b32 s13, 0, 2
	s_lshl_b32 s22, s16, 2
	v_or_b32_e32 v7, s13, v7
	v_readfirstlane_b32 s20, v32
	v_readfirstlane_b32 s21, v33
	s_add_i32 s22, s22, 28
	v_and_or_b32 v14, 0x1e0, s22, v7
	global_store_dwordx4 v48, v[18:21], s[20:21] offset:16
	global_store_dwordx4 v48, v[22:25], s[20:21] offset:32
	global_store_dwordx4 v48, v[14:17], s[20:21]
	global_store_dwordx4 v48, v[26:29], s[20:21] offset:48
	s_and_saveexec_b32 s13, s5
	s_cbranch_execz .LBB0_417
; %bb.410:                              ;   in Loop: Header=BB0_352 Depth=2
	s_clause 0x1
	global_load_dwordx2 v[22:23], v8, s[6:7] offset:32 glc dlc
	global_load_dwordx2 v[14:15], v8, s[6:7] offset:40
	v_mov_b32_e32 v20, s18
	v_mov_b32_e32 v21, s19
	s_waitcnt vmcnt(0)
	v_readfirstlane_b32 s20, v14
	v_readfirstlane_b32 s21, v15
	s_and_b64 s[20:21], s[20:21], s[18:19]
	s_mul_i32 s21, s21, 24
	s_mul_hi_u32 s22, s20, 24
	s_mul_i32 s20, s20, 24
	s_add_i32 s22, s22, s21
	v_add_co_u32 v18, vcc_lo, v30, s20
	v_add_co_ci_u32_e64 v19, null, s22, v31, vcc_lo
	s_mov_b32 s20, exec_lo
	global_store_dwordx2 v[18:19], v[22:23], off
	s_waitcnt_vscnt null, 0x0
	global_atomic_cmpswap_x2 v[16:17], v8, v[20:23], s[6:7] offset:32 glc
	s_waitcnt vmcnt(0)
	v_cmpx_ne_u64_e64 v[16:17], v[22:23]
	s_cbranch_execz .LBB0_413
; %bb.411:                              ;   in Loop: Header=BB0_352 Depth=2
	s_mov_b32 s21, 0
.LBB0_412:                              ;   Parent Loop BB0_39 Depth=1
                                        ;     Parent Loop BB0_352 Depth=2
                                        ; =>    This Inner Loop Header: Depth=3
	v_mov_b32_e32 v14, s18
	v_mov_b32_e32 v15, s19
	s_sleep 1
	global_store_dwordx2 v[18:19], v[16:17], off
	s_waitcnt_vscnt null, 0x0
	global_atomic_cmpswap_x2 v[14:15], v8, v[14:17], s[6:7] offset:32 glc
	s_waitcnt vmcnt(0)
	v_cmp_eq_u64_e32 vcc_lo, v[14:15], v[16:17]
	v_mov_b32_e32 v17, v15
	v_mov_b32_e32 v16, v14
	s_or_b32 s21, vcc_lo, s21
	s_andn2_b32 exec_lo, exec_lo, s21
	s_cbranch_execnz .LBB0_412
.LBB0_413:                              ;   in Loop: Header=BB0_352 Depth=2
	s_or_b32 exec_lo, exec_lo, s20
	global_load_dwordx2 v[14:15], v8, s[6:7] offset:16
	s_mov_b32 s21, exec_lo
	s_mov_b32 s20, exec_lo
	v_mbcnt_lo_u32_b32 v7, s21, 0
	v_cmpx_eq_u32_e32 0, v7
	s_cbranch_execz .LBB0_415
; %bb.414:                              ;   in Loop: Header=BB0_352 Depth=2
	s_bcnt1_i32_b32 s21, s21
	v_mov_b32_e32 v7, s21
	s_waitcnt vmcnt(0)
	global_atomic_add_x2 v[14:15], v[7:8], off offset:8
.LBB0_415:                              ;   in Loop: Header=BB0_352 Depth=2
	s_or_b32 exec_lo, exec_lo, s20
	s_waitcnt vmcnt(0)
	global_load_dwordx2 v[16:17], v[14:15], off offset:16
	s_waitcnt vmcnt(0)
	v_cmp_eq_u64_e32 vcc_lo, 0, v[16:17]
	s_cbranch_vccnz .LBB0_417
; %bb.416:                              ;   in Loop: Header=BB0_352 Depth=2
	global_load_dword v7, v[14:15], off offset:24
	s_waitcnt vmcnt(0)
	v_readfirstlane_b32 s20, v7
	s_waitcnt_vscnt null, 0x0
	global_store_dwordx2 v[16:17], v[7:8], off
	s_and_b32 m0, s20, 0x7fffff
	s_sendmsg sendmsg(MSG_INTERRUPT)
.LBB0_417:                              ;   in Loop: Header=BB0_352 Depth=2
	s_or_b32 exec_lo, exec_lo, s13
	v_add_co_u32 v14, vcc_lo, v32, v48
	v_add_co_ci_u32_e64 v15, null, 0, v33, vcc_lo
	s_branch .LBB0_421
	.p2align	6
.LBB0_418:                              ;   in Loop: Header=BB0_421 Depth=3
	s_or_b32 exec_lo, exec_lo, s13
	v_readfirstlane_b32 s13, v7
	s_cmp_eq_u32 s13, 0
	s_cbranch_scc1 .LBB0_420
; %bb.419:                              ;   in Loop: Header=BB0_421 Depth=3
	s_sleep 1
	s_cbranch_execnz .LBB0_421
	s_branch .LBB0_423
	.p2align	6
.LBB0_420:                              ;   in Loop: Header=BB0_352 Depth=2
	s_branch .LBB0_423
.LBB0_421:                              ;   Parent Loop BB0_39 Depth=1
                                        ;     Parent Loop BB0_352 Depth=2
                                        ; =>    This Inner Loop Header: Depth=3
	v_mov_b32_e32 v7, 1
	s_and_saveexec_b32 s13, s5
	s_cbranch_execz .LBB0_418
; %bb.422:                              ;   in Loop: Header=BB0_421 Depth=3
	global_load_dword v7, v[34:35], off offset:20 glc dlc
	s_waitcnt vmcnt(0)
	buffer_gl1_inv
	buffer_gl0_inv
	v_and_b32_e32 v7, 1, v7
	s_branch .LBB0_418
.LBB0_423:                              ;   in Loop: Header=BB0_352 Depth=2
	global_load_dwordx4 v[14:17], v[14:15], off
	s_and_saveexec_b32 s13, s5
	s_cbranch_execz .LBB0_351
; %bb.424:                              ;   in Loop: Header=BB0_352 Depth=2
	s_clause 0x2
	global_load_dwordx2 v[16:17], v8, s[6:7] offset:40
	global_load_dwordx2 v[24:25], v8, s[6:7] offset:24 glc dlc
	global_load_dwordx2 v[18:19], v8, s[6:7]
	s_waitcnt vmcnt(2)
	v_readfirstlane_b32 s20, v16
	v_readfirstlane_b32 s21, v17
	s_add_u32 s5, s20, 1
	s_addc_u32 s22, s21, 0
	s_add_u32 s18, s5, s18
	s_addc_u32 s19, s22, s19
	s_cmp_eq_u64 s[18:19], 0
	s_cselect_b32 s19, s22, s19
	s_cselect_b32 s18, s5, s18
	v_mov_b32_e32 v23, s19
	s_and_b64 s[20:21], s[18:19], s[20:21]
	v_mov_b32_e32 v22, s18
	s_mul_i32 s5, s21, 24
	s_mul_hi_u32 s21, s20, 24
	s_mul_i32 s20, s20, 24
	s_add_i32 s21, s21, s5
	s_waitcnt vmcnt(0)
	v_add_co_u32 v20, vcc_lo, v18, s20
	v_add_co_ci_u32_e64 v21, null, s21, v19, vcc_lo
	global_store_dwordx2 v[20:21], v[24:25], off
	s_waitcnt_vscnt null, 0x0
	global_atomic_cmpswap_x2 v[18:19], v8, v[22:25], s[6:7] offset:24 glc
	s_waitcnt vmcnt(0)
	v_cmp_ne_u64_e32 vcc_lo, v[18:19], v[24:25]
	s_and_b32 exec_lo, exec_lo, vcc_lo
	s_cbranch_execz .LBB0_351
; %bb.425:                              ;   in Loop: Header=BB0_352 Depth=2
	s_mov_b32 s5, 0
.LBB0_426:                              ;   Parent Loop BB0_39 Depth=1
                                        ;     Parent Loop BB0_352 Depth=2
                                        ; =>    This Inner Loop Header: Depth=3
	v_mov_b32_e32 v16, s18
	v_mov_b32_e32 v17, s19
	s_sleep 1
	global_store_dwordx2 v[20:21], v[18:19], off
	s_waitcnt_vscnt null, 0x0
	global_atomic_cmpswap_x2 v[16:17], v8, v[16:19], s[6:7] offset:24 glc
	s_waitcnt vmcnt(0)
	v_cmp_eq_u64_e32 vcc_lo, v[16:17], v[18:19]
	v_mov_b32_e32 v19, v17
	v_mov_b32_e32 v18, v16
	s_or_b32 s5, vcc_lo, s5
	s_andn2_b32 exec_lo, exec_lo, s5
	s_cbranch_execnz .LBB0_426
	s_branch .LBB0_351
.LBB0_427:                              ;   in Loop: Header=BB0_39 Depth=1
	s_branch .LBB0_457
.LBB0_428:                              ;   in Loop: Header=BB0_39 Depth=1
	s_cbranch_execz .LBB0_457
; %bb.429:                              ;   in Loop: Header=BB0_39 Depth=1
	v_readfirstlane_b32 s5, v37
	s_waitcnt vmcnt(0)
	v_mov_b32_e32 v14, 0
	v_mov_b32_e32 v15, 0
	v_cmp_eq_u32_e64 s5, s5, v37
	s_and_saveexec_b32 s10, s5
	s_cbranch_execz .LBB0_435
; %bb.430:                              ;   in Loop: Header=BB0_39 Depth=1
	global_load_dwordx2 v[16:17], v8, s[6:7] offset:24 glc dlc
	s_waitcnt vmcnt(0)
	buffer_gl1_inv
	buffer_gl0_inv
	s_clause 0x1
	global_load_dwordx2 v[14:15], v8, s[6:7] offset:40
	global_load_dwordx2 v[18:19], v8, s[6:7]
	s_mov_b32 s11, exec_lo
	s_waitcnt vmcnt(1)
	v_and_b32_e32 v7, v15, v17
	v_and_b32_e32 v14, v14, v16
	v_mul_lo_u32 v7, v7, 24
	v_mul_hi_u32 v15, v14, 24
	v_mul_lo_u32 v14, v14, 24
	v_add_nc_u32_e32 v7, v15, v7
	s_waitcnt vmcnt(0)
	v_add_co_u32 v14, vcc_lo, v18, v14
	v_add_co_ci_u32_e64 v15, null, v19, v7, vcc_lo
	global_load_dwordx2 v[14:15], v[14:15], off glc dlc
	s_waitcnt vmcnt(0)
	global_atomic_cmpswap_x2 v[14:15], v8, v[14:17], s[6:7] offset:24 glc
	s_waitcnt vmcnt(0)
	buffer_gl1_inv
	buffer_gl0_inv
	v_cmpx_ne_u64_e64 v[14:15], v[16:17]
	s_cbranch_execz .LBB0_434
; %bb.431:                              ;   in Loop: Header=BB0_39 Depth=1
	s_mov_b32 s13, 0
	.p2align	6
.LBB0_432:                              ;   Parent Loop BB0_39 Depth=1
                                        ; =>  This Inner Loop Header: Depth=2
	s_sleep 1
	s_clause 0x1
	global_load_dwordx2 v[18:19], v8, s[6:7] offset:40
	global_load_dwordx2 v[20:21], v8, s[6:7]
	v_mov_b32_e32 v17, v15
	v_mov_b32_e32 v16, v14
	s_waitcnt vmcnt(1)
	v_and_b32_e32 v7, v18, v16
	v_and_b32_e32 v18, v19, v17
	s_waitcnt vmcnt(0)
	v_mad_u64_u32 v[14:15], null, v7, 24, v[20:21]
	v_mov_b32_e32 v7, v15
	v_mad_u64_u32 v[18:19], null, v18, 24, v[7:8]
	v_mov_b32_e32 v15, v18
	global_load_dwordx2 v[14:15], v[14:15], off glc dlc
	s_waitcnt vmcnt(0)
	global_atomic_cmpswap_x2 v[14:15], v8, v[14:17], s[6:7] offset:24 glc
	s_waitcnt vmcnt(0)
	buffer_gl1_inv
	buffer_gl0_inv
	v_cmp_eq_u64_e32 vcc_lo, v[14:15], v[16:17]
	s_or_b32 s13, vcc_lo, s13
	s_andn2_b32 exec_lo, exec_lo, s13
	s_cbranch_execnz .LBB0_432
; %bb.433:                              ;   in Loop: Header=BB0_39 Depth=1
	s_or_b32 exec_lo, exec_lo, s13
.LBB0_434:                              ;   in Loop: Header=BB0_39 Depth=1
	s_or_b32 exec_lo, exec_lo, s11
.LBB0_435:                              ;   in Loop: Header=BB0_39 Depth=1
	s_or_b32 exec_lo, exec_lo, s10
	s_clause 0x1
	global_load_dwordx2 v[20:21], v8, s[6:7] offset:40
	global_load_dwordx4 v[16:19], v8, s[6:7]
	v_readfirstlane_b32 s11, v15
	v_readfirstlane_b32 s10, v14
	s_mov_b32 s13, exec_lo
	s_waitcnt vmcnt(1)
	v_readfirstlane_b32 s14, v20
	v_readfirstlane_b32 s15, v21
	s_and_b64 s[14:15], s[14:15], s[10:11]
	s_mul_i32 s16, s15, 24
	s_mul_hi_u32 s17, s14, 24
	s_mul_i32 s18, s14, 24
	s_add_i32 s17, s17, s16
	s_waitcnt vmcnt(0)
	v_add_co_u32 v20, vcc_lo, v16, s18
	v_add_co_ci_u32_e64 v21, null, s17, v17, vcc_lo
	s_and_saveexec_b32 s16, s5
	s_cbranch_execz .LBB0_437
; %bb.436:                              ;   in Loop: Header=BB0_39 Depth=1
	v_mov_b32_e32 v7, s13
	global_store_dwordx4 v[20:21], v[7:10], off offset:8
.LBB0_437:                              ;   in Loop: Header=BB0_39 Depth=1
	s_or_b32 exec_lo, exec_lo, s16
	s_lshl_b64 s[14:15], s[14:15], 12
	s_mov_b32 s13, s12
	v_add_co_u32 v7, vcc_lo, v18, s14
	v_add_co_ci_u32_e64 v18, null, s15, v19, vcc_lo
	s_mov_b32 s15, s12
	s_mov_b32 s14, s12
	v_and_or_b32 v12, 0xffffff1d, v12, 34
	v_mov_b32_e32 v14, v8
	v_mov_b32_e32 v15, v8
	v_readfirstlane_b32 s16, v7
	v_readfirstlane_b32 s17, v18
	v_mov_b32_e32 v25, s15
	v_mov_b32_e32 v24, s14
	;; [unrolled: 1-line block ×4, first 2 shown]
	global_store_dwordx4 v48, v[12:15], s[16:17]
	global_store_dwordx4 v48, v[22:25], s[16:17] offset:16
	global_store_dwordx4 v48, v[22:25], s[16:17] offset:32
	;; [unrolled: 1-line block ×3, first 2 shown]
	s_and_saveexec_b32 s13, s5
	s_cbranch_execz .LBB0_445
; %bb.438:                              ;   in Loop: Header=BB0_39 Depth=1
	s_clause 0x1
	global_load_dwordx2 v[24:25], v8, s[6:7] offset:32 glc dlc
	global_load_dwordx2 v[12:13], v8, s[6:7] offset:40
	v_mov_b32_e32 v22, s10
	v_mov_b32_e32 v23, s11
	s_waitcnt vmcnt(0)
	v_readfirstlane_b32 s14, v12
	v_readfirstlane_b32 s15, v13
	s_and_b64 s[14:15], s[14:15], s[10:11]
	s_mul_i32 s15, s15, 24
	s_mul_hi_u32 s16, s14, 24
	s_mul_i32 s14, s14, 24
	s_add_i32 s16, s16, s15
	v_add_co_u32 v16, vcc_lo, v16, s14
	v_add_co_ci_u32_e64 v17, null, s16, v17, vcc_lo
	s_mov_b32 s14, exec_lo
	global_store_dwordx2 v[16:17], v[24:25], off
	s_waitcnt_vscnt null, 0x0
	global_atomic_cmpswap_x2 v[14:15], v8, v[22:25], s[6:7] offset:32 glc
	s_waitcnt vmcnt(0)
	v_cmpx_ne_u64_e64 v[14:15], v[24:25]
	s_cbranch_execz .LBB0_441
; %bb.439:                              ;   in Loop: Header=BB0_39 Depth=1
	s_mov_b32 s15, 0
.LBB0_440:                              ;   Parent Loop BB0_39 Depth=1
                                        ; =>  This Inner Loop Header: Depth=2
	v_mov_b32_e32 v12, s10
	v_mov_b32_e32 v13, s11
	s_sleep 1
	global_store_dwordx2 v[16:17], v[14:15], off
	s_waitcnt_vscnt null, 0x0
	global_atomic_cmpswap_x2 v[12:13], v8, v[12:15], s[6:7] offset:32 glc
	s_waitcnt vmcnt(0)
	v_cmp_eq_u64_e32 vcc_lo, v[12:13], v[14:15]
	v_mov_b32_e32 v15, v13
	v_mov_b32_e32 v14, v12
	s_or_b32 s15, vcc_lo, s15
	s_andn2_b32 exec_lo, exec_lo, s15
	s_cbranch_execnz .LBB0_440
.LBB0_441:                              ;   in Loop: Header=BB0_39 Depth=1
	s_or_b32 exec_lo, exec_lo, s14
	global_load_dwordx2 v[12:13], v8, s[6:7] offset:16
	s_mov_b32 s15, exec_lo
	s_mov_b32 s14, exec_lo
	v_mbcnt_lo_u32_b32 v7, s15, 0
	v_cmpx_eq_u32_e32 0, v7
	s_cbranch_execz .LBB0_443
; %bb.442:                              ;   in Loop: Header=BB0_39 Depth=1
	s_bcnt1_i32_b32 s15, s15
	v_mov_b32_e32 v7, s15
	s_waitcnt vmcnt(0)
	global_atomic_add_x2 v[12:13], v[7:8], off offset:8
.LBB0_443:                              ;   in Loop: Header=BB0_39 Depth=1
	s_or_b32 exec_lo, exec_lo, s14
	s_waitcnt vmcnt(0)
	global_load_dwordx2 v[14:15], v[12:13], off offset:16
	s_waitcnt vmcnt(0)
	v_cmp_eq_u64_e32 vcc_lo, 0, v[14:15]
	s_cbranch_vccnz .LBB0_445
; %bb.444:                              ;   in Loop: Header=BB0_39 Depth=1
	global_load_dword v7, v[12:13], off offset:24
	s_waitcnt vmcnt(0)
	v_readfirstlane_b32 s14, v7
	s_waitcnt_vscnt null, 0x0
	global_store_dwordx2 v[14:15], v[7:8], off
	s_and_b32 m0, s14, 0x7fffff
	s_sendmsg sendmsg(MSG_INTERRUPT)
.LBB0_445:                              ;   in Loop: Header=BB0_39 Depth=1
	s_or_b32 exec_lo, exec_lo, s13
	s_branch .LBB0_449
	.p2align	6
.LBB0_446:                              ;   in Loop: Header=BB0_449 Depth=2
	s_or_b32 exec_lo, exec_lo, s13
	v_readfirstlane_b32 s13, v7
	s_cmp_eq_u32 s13, 0
	s_cbranch_scc1 .LBB0_448
; %bb.447:                              ;   in Loop: Header=BB0_449 Depth=2
	s_sleep 1
	s_cbranch_execnz .LBB0_449
	s_branch .LBB0_451
	.p2align	6
.LBB0_448:                              ;   in Loop: Header=BB0_39 Depth=1
	s_branch .LBB0_451
.LBB0_449:                              ;   Parent Loop BB0_39 Depth=1
                                        ; =>  This Inner Loop Header: Depth=2
	v_mov_b32_e32 v7, 1
	s_and_saveexec_b32 s13, s5
	s_cbranch_execz .LBB0_446
; %bb.450:                              ;   in Loop: Header=BB0_449 Depth=2
	global_load_dword v7, v[20:21], off offset:20 glc dlc
	s_waitcnt vmcnt(0)
	buffer_gl1_inv
	buffer_gl0_inv
	v_and_b32_e32 v7, 1, v7
	s_branch .LBB0_446
.LBB0_451:                              ;   in Loop: Header=BB0_39 Depth=1
	s_and_saveexec_b32 s13, s5
	s_xor_b32 s5, exec_lo, s13
	s_cbranch_execz .LBB0_456
; %bb.452:                              ;   in Loop: Header=BB0_39 Depth=1
	s_clause 0x2
	global_load_dwordx2 v[12:13], v8, s[6:7] offset:40
	global_load_dwordx2 v[20:21], v8, s[6:7] offset:24 glc dlc
	global_load_dwordx2 v[14:15], v8, s[6:7]
	s_waitcnt vmcnt(2)
	v_readfirstlane_b32 s14, v12
	v_readfirstlane_b32 s15, v13
	s_add_u32 s13, s14, 1
	s_addc_u32 s16, s15, 0
	s_add_u32 s10, s13, s10
	s_addc_u32 s11, s16, s11
	s_cmp_eq_u64 s[10:11], 0
	s_cselect_b32 s11, s16, s11
	s_cselect_b32 s10, s13, s10
	v_mov_b32_e32 v19, s11
	s_and_b64 s[14:15], s[10:11], s[14:15]
	v_mov_b32_e32 v18, s10
	s_mul_i32 s13, s15, 24
	s_mul_hi_u32 s15, s14, 24
	s_mul_i32 s14, s14, 24
	s_add_i32 s15, s15, s13
	s_waitcnt vmcnt(0)
	v_add_co_u32 v16, vcc_lo, v14, s14
	v_add_co_ci_u32_e64 v17, null, s15, v15, vcc_lo
	s_mov_b32 s13, exec_lo
	global_store_dwordx2 v[16:17], v[20:21], off
	s_waitcnt_vscnt null, 0x0
	global_atomic_cmpswap_x2 v[14:15], v8, v[18:21], s[6:7] offset:24 glc
	s_waitcnt vmcnt(0)
	v_cmpx_ne_u64_e64 v[14:15], v[20:21]
	s_cbranch_execz .LBB0_455
; %bb.453:                              ;   in Loop: Header=BB0_39 Depth=1
	s_mov_b32 s14, 0
.LBB0_454:                              ;   Parent Loop BB0_39 Depth=1
                                        ; =>  This Inner Loop Header: Depth=2
	v_mov_b32_e32 v12, s10
	v_mov_b32_e32 v13, s11
	s_sleep 1
	global_store_dwordx2 v[16:17], v[14:15], off
	s_waitcnt_vscnt null, 0x0
	global_atomic_cmpswap_x2 v[12:13], v8, v[12:15], s[6:7] offset:24 glc
	s_waitcnt vmcnt(0)
	v_cmp_eq_u64_e32 vcc_lo, v[12:13], v[14:15]
	v_mov_b32_e32 v15, v13
	v_mov_b32_e32 v14, v12
	s_or_b32 s14, vcc_lo, s14
	s_andn2_b32 exec_lo, exec_lo, s14
	s_cbranch_execnz .LBB0_454
.LBB0_455:                              ;   in Loop: Header=BB0_39 Depth=1
	s_or_b32 exec_lo, exec_lo, s13
.LBB0_456:                              ;   in Loop: Header=BB0_39 Depth=1
	s_or_b32 exec_lo, exec_lo, s5
.LBB0_457:                              ;   in Loop: Header=BB0_39 Depth=1
	s_mov_b32 s5, exec_lo
	v_mov_b32_e32 v7, v36
.LBB0_458:                              ;   in Loop: Header=BB0_39 Depth=1
	s_or_b32 exec_lo, exec_lo, s26
	s_orn2_b32 s5, s5, exec_lo
.LBB0_459:                              ;   in Loop: Header=BB0_39 Depth=1
	s_or_b32 exec_lo, exec_lo, s25
	s_mov_b32 s7, 0
.LBB0_460:                              ;   in Loop: Header=BB0_39 Depth=1
                                        ; implicit-def: $sgpr6
	s_branch .LBB0_38
.LBB0_461:
	v_mad_u64_u32 v[0:1], null, v38, 56, v[0:1]
	s_waitcnt vmcnt(0) lgkmcnt(0)
	s_setpc_b64 s[30:31]
.LBB0_462:
	v_cmp_lt_i32_e32 vcc_lo, 2, v9
	v_mov_b32_e32 v9, v5
	s_and_saveexec_b32 s4, vcc_lo
	s_cbranch_execz .LBB0_464
; %bb.463:
	flat_load_ubyte v9, v[7:8] offset:2
	s_waitcnt vmcnt(0) lgkmcnt(0)
	v_lshlrev_b32_e32 v9, 16, v9
	v_xor_b32_e32 v9, v9, v5
.LBB0_464:
	s_or_b32 exec_lo, exec_lo, s4
	flat_load_ubyte v10, v[7:8] offset:1
	s_mov_b32 s4, exec_lo
	s_waitcnt vmcnt(0) lgkmcnt(0)
	v_lshlrev_b32_e32 v10, 8, v10
	v_xor_b32_e32 v10, v10, v9
                                        ; implicit-def: $vgpr9
	s_andn2_saveexec_b32 s6, s6
	s_cbranch_execz .LBB0_7
.LBB0_465:
	v_cmp_eq_u32_e32 vcc_lo, 1, v9
	v_mov_b32_e32 v10, v5
	s_andn2_b32 s4, s4, exec_lo
	s_and_b32 s7, vcc_lo, exec_lo
	s_or_b32 s4, s4, s7
	s_or_b32 exec_lo, exec_lo, s6
	s_and_saveexec_b32 s6, s4
	s_cbranch_execnz .LBB0_8
	s_branch .LBB0_9
.LBB0_466:
	flat_load_ubyte v14, v[7:8] offset:2
	s_mov_b32 s6, exec_lo
	s_waitcnt vmcnt(0) lgkmcnt(0)
	v_lshlrev_b32_e32 v14, 16, v14
	s_andn2_saveexec_b32 s7, s7
	s_cbranch_execz .LBB0_22
.LBB0_467:
	v_cmp_eq_u32_e32 vcc_lo, 2, v9
	v_mov_b32_e32 v14, 0
	s_andn2_b32 s6, s6, exec_lo
	s_and_b32 s10, vcc_lo, exec_lo
	s_or_b32 s6, s6, s10
	s_or_b32 exec_lo, exec_lo, s7
	v_mov_b32_e32 v15, 0
	s_and_saveexec_b32 s7, s6
	s_cbranch_execnz .LBB0_23
	s_branch .LBB0_24
.LBB0_468:
	flat_load_ubyte v9, v[7:8] offset:1
	s_mov_b32 s6, exec_lo
                                        ; implicit-def: $vgpr10
	s_waitcnt vmcnt(0) lgkmcnt(0)
	v_lshlrev_b32_e32 v9, 8, v9
	v_xor_b32_e32 v9, v9, v5
	s_andn2_saveexec_b32 s7, s7
	s_cbranch_execz .LBB0_26
.LBB0_469:
	v_cmp_eq_u32_e32 vcc_lo, 1, v10
	v_mov_b32_e32 v9, v5
	s_andn2_b32 s6, s6, exec_lo
	s_and_b32 s10, vcc_lo, exec_lo
	s_or_b32 s6, s6, s10
	s_or_b32 exec_lo, exec_lo, s7
	s_and_saveexec_b32 s7, s6
	s_cbranch_execnz .LBB0_27
	s_branch .LBB0_28
.LBB0_470:
	flat_load_ubyte v9, v[7:8] offset:1
	s_mov_b32 s6, exec_lo
	s_waitcnt vmcnt(0) lgkmcnt(0)
	v_lshlrev_b32_e32 v9, 8, v9
	s_andn2_saveexec_b32 s7, s7
	s_cbranch_execz .LBB0_32
.LBB0_471:
	v_cmp_eq_u32_e32 vcc_lo, 1, v12
	v_mov_b32_e32 v9, 0
	s_andn2_b32 s6, s6, exec_lo
	s_and_b32 s10, vcc_lo, exec_lo
	s_or_b32 s6, s6, s10
	s_or_b32 exec_lo, exec_lo, s7
	s_and_saveexec_b32 s7, s6
	s_cbranch_execnz .LBB0_33
	s_branch .LBB0_34
.Lfunc_end0:
	.size	_Z13ht_get_atomicP6loc_ht9cstr_typej, .Lfunc_end0-_Z13ht_get_atomicP6loc_ht9cstr_typej
                                        ; -- End function
	.set .L_Z13ht_get_atomicP6loc_ht9cstr_typej.num_vgpr, 51
	.set .L_Z13ht_get_atomicP6loc_ht9cstr_typej.num_agpr, 0
	.set .L_Z13ht_get_atomicP6loc_ht9cstr_typej.numbered_sgpr, 32
	.set .L_Z13ht_get_atomicP6loc_ht9cstr_typej.num_named_barrier, 0
	.set .L_Z13ht_get_atomicP6loc_ht9cstr_typej.private_seg_size, 0
	.set .L_Z13ht_get_atomicP6loc_ht9cstr_typej.uses_vcc, 1
	.set .L_Z13ht_get_atomicP6loc_ht9cstr_typej.uses_flat_scratch, 0
	.set .L_Z13ht_get_atomicP6loc_ht9cstr_typej.has_dyn_sized_stack, 0
	.set .L_Z13ht_get_atomicP6loc_ht9cstr_typej.has_recursion, 0
	.set .L_Z13ht_get_atomicP6loc_ht9cstr_typej.has_indirect_call, 0
	.section	.AMDGPU.csdata,"",@progbits
; Function info:
; codeLenInByte = 16900
; TotalNumSgprs: 34
; NumVgprs: 51
; ScratchSize: 0
; MemoryBound: 0
	.section	.text._Z22iterative_walks_kernelILi32EEvPjS0_PcS1_S1_S0_S0_PdP6loc_htS0_P11loc_ht_boolijS0_llliijS1_S1_S0_i,"axG",@progbits,_Z22iterative_walks_kernelILi32EEvPjS0_PcS1_S1_S0_S0_PdP6loc_htS0_P11loc_ht_boolijS0_llliijS1_S1_S0_i,comdat
	.protected	_Z22iterative_walks_kernelILi32EEvPjS0_PcS1_S1_S0_S0_PdP6loc_htS0_P11loc_ht_boolijS0_llliijS1_S1_S0_i ; -- Begin function _Z22iterative_walks_kernelILi32EEvPjS0_PcS1_S1_S0_S0_PdP6loc_htS0_P11loc_ht_boolijS0_llliijS1_S1_S0_i
	.globl	_Z22iterative_walks_kernelILi32EEvPjS0_PcS1_S1_S0_S0_PdP6loc_htS0_P11loc_ht_boolijS0_llliijS1_S1_S0_i
	.p2align	8
	.type	_Z22iterative_walks_kernelILi32EEvPjS0_PcS1_S1_S0_S0_PdP6loc_htS0_P11loc_ht_boolijS0_llliijS1_S1_S0_i,@function
_Z22iterative_walks_kernelILi32EEvPjS0_PcS1_S1_S0_S0_PdP6loc_htS0_P11loc_ht_boolijS0_llliijS1_S1_S0_i: ; @_Z22iterative_walks_kernelILi32EEvPjS0_PcS1_S1_S0_S0_PdP6loc_htS0_P11loc_ht_boolijS0_llliijS1_S1_S0_i
; %bb.0:
	s_mov_b64 s[34:35], s[4:5]
	s_load_dword s4, s[4:5], 0xbc
	s_load_dword s5, s[34:35], 0xa8
	s_add_u32 s0, s0, s7
	s_addc_u32 s1, s1, 0
	s_add_u32 s52, s34, 0xb0
	s_addc_u32 s53, s35, 0
	s_movk_i32 s32, 0xc00
	s_waitcnt lgkmcnt(0)
	s_and_b32 s4, s4, 0xffff
	v_mad_u64_u32 v[1:2], null, s6, s4, v[0:1]
	s_mov_b32 s4, exec_lo
	v_lshrrev_b32_e32 v7, 5, v1
	v_cmpx_gt_i32_e64 s5, v7
	s_cbranch_execz .LBB1_708
; %bb.1:
	s_clause 0x4
	s_load_dwordx16 s[36:51], s[34:35], 0x8
	s_load_dwordx4 s[8:11], s[34:35], 0x48
	s_load_dwordx2 s[6:7], s[34:35], 0x58
	s_load_dwordx2 s[54:55], s[34:35], 0x70
	s_load_dwordx4 s[12:15], s[34:35], 0x90
	v_cmp_lt_u32_e64 s33, 31, v1
	v_lshlrev_b32_e32 v47, 2, v7
                                        ; implicit-def: $vgpr55_vgpr56
                                        ; implicit-def: $vgpr57_vgpr58
                                        ; implicit-def: $vgpr61_vgpr62
                                        ; implicit-def: $vgpr65_vgpr66
                                        ; implicit-def: $vgpr59_vgpr60
                                        ; implicit-def: $vgpr42
                                        ; implicit-def: $vgpr40_vgpr41
                                        ; implicit-def: $vgpr77
                                        ; implicit-def: $vgpr63_vgpr64
                                        ; implicit-def: $vgpr78
                                        ; implicit-def: $vgpr1_vgpr2
	s_and_saveexec_b32 s4, s33
	s_xor_b32 s5, exec_lo, s4
	s_cbranch_execz .LBB1_7
; %bb.2:
	s_waitcnt lgkmcnt(0)
	global_load_dwordx2 v[3:4], v47, s[46:47] offset:-4
	v_lshlrev_b32_e32 v1, 3, v7
	v_mov_b32_e32 v56, s41
	v_mov_b32_e32 v55, s40
	global_load_dwordx2 v[5:6], v47, s[36:37] offset:-4
	global_load_dwordx2 v[1:2], v1, s[48:49]
	s_waitcnt vmcnt(2)
	v_cmp_ne_u32_e32 vcc_lo, 0, v3
	s_and_saveexec_b32 s16, vcc_lo
	s_cbranch_execz .LBB1_4
; %bb.3:
	v_add_nc_u32_e32 v8, -1, v3
	v_mov_b32_e32 v9, 0
	v_lshlrev_b64 v[8:9], 2, v[8:9]
	v_add_co_u32 v8, s4, s44, v8
	v_add_co_ci_u32_e64 v9, null, s45, v9, s4
	global_load_dword v8, v[8:9], off
	s_waitcnt vmcnt(0)
	v_add_co_u32 v55, s4, s40, v8
	v_add_co_ci_u32_e64 v56, null, s41, 0, s4
.LBB1_4:
	s_or_b32 exec_lo, exec_lo, s16
	v_mov_b32_e32 v58, s43
	v_mov_b32_e32 v57, s42
	s_and_saveexec_b32 s4, vcc_lo
	s_cbranch_execz .LBB1_6
; %bb.5:
	v_add_nc_u32_e32 v8, -1, v3
	v_mov_b32_e32 v9, 0
	v_lshlrev_b64 v[8:9], 2, v[8:9]
	v_add_co_u32 v8, vcc_lo, s44, v8
	v_add_co_ci_u32_e64 v9, null, s45, v9, vcc_lo
	global_load_dword v8, v[8:9], off
	s_waitcnt vmcnt(0)
	v_add_co_u32 v57, s16, s42, v8
	v_add_co_ci_u32_e64 v58, null, s43, 0, s16
.LBB1_6:
	s_or_b32 exec_lo, exec_lo, s4
	global_load_dwordx2 v[8:9], v47, s[8:9] offset:-4
	v_mad_u64_u32 v[10:11], null, s54, v7, 0
	s_add_u32 s4, s54, s7
	s_waitcnt vmcnt(2)
	v_sub_nc_u32_e32 v77, v6, v5
	v_mad_u64_u32 v[61:62], null, s4, v7, s[14:15]
	v_add_co_u32 v63, s4, s38, v5
	v_mad_u64_u32 v[59:60], null, v10, 24, s[10:11]
	v_mad_u64_u32 v[11:12], null, s55, v7, v[11:12]
	v_add_co_ci_u32_e64 v64, null, s39, 0, s4
	s_addc_u32 s4, s55, 0
	v_add_co_u32 v65, vcc_lo, s12, v10
	v_mov_b32_e32 v12, v60
	v_add_co_ci_u32_e64 v66, null, s13, v11, vcc_lo
	v_sub_nc_u32_e32 v78, v4, v3
	v_mad_u64_u32 v[12:13], null, v11, 24, v[12:13]
	v_mov_b32_e32 v13, v62
	v_mad_u64_u32 v[5:6], null, s4, v7, v[13:14]
	v_mov_b32_e32 v60, v12
	v_mov_b32_e32 v62, v5
	s_waitcnt vmcnt(0)
	v_mad_u64_u32 v[40:41], null, v8, 56, s[50:51]
	v_sub_nc_u32_e32 v42, v9, v8
.LBB1_7:
	s_or_saveexec_b32 s4, s5
	s_load_dwordx2 s[56:57], s[34:35], 0xa0
	s_xor_b32 exec_lo, exec_lo, s4
	s_cbranch_execz .LBB1_9
; %bb.8:
	s_waitcnt lgkmcnt(0)
	s_load_dwordx2 s[16:17], s[48:49], 0x0
	s_load_dword s5, s[46:47], 0x0
	s_load_dword s7, s[36:37], 0x0
	;; [unrolled: 1-line block ×3, first 2 shown]
	v_mov_b32_e32 v64, s39
	v_mov_b32_e32 v40, s50
	;; [unrolled: 1-line block ×14, first 2 shown]
	s_waitcnt lgkmcnt(0)
	v_mov_b32_e32 v1, s16
	v_mov_b32_e32 v2, s17
	;; [unrolled: 1-line block ×5, first 2 shown]
.LBB1_9:
	s_or_b32 exec_lo, exec_lo, s4
	v_min_i32_e32 v79, 0x79, v77
	s_waitcnt lgkmcnt(0)
	s_cmp_gt_i32 s6, 20
	v_and_b32_e32 v67, 31, v0
	v_mov_b32_e32 v0, 0
	s_cselect_b32 s4, -1, 0
	v_cmp_le_i32_e32 vcc_lo, s6, v79
	s_and_b32 s4, s4, vcc_lo
	s_and_saveexec_b32 s48, s4
	s_cbranch_execz .LBB1_706
; %bb.10:
	v_cvt_i32_f64_e32 v0, v[1:2]
	v_cvt_f32_u32_e32 v2, s54
	v_cvt_f32_u32_e32 v3, v42
	s_mov_b32 s8, 0x9999999a
	s_mov_b32 s10, 0x33333333
	;; [unrolled: 1-line block ×3, first 2 shown]
	v_rcp_iflag_f32_e32 v2, v2
	v_rcp_iflag_f32_e32 v3, v3
	s_mov_b32 s11, 0x3fd33333
	s_getpc_b64 s[4:5]
	s_add_u32 s4, s4, .str.3@rel32@lo+4
	s_addc_u32 s5, s5, .str.3@rel32@hi+12
	v_sub_nc_u32_e32 v4, 0, v42
	s_cmp_lg_u64 s[4:5], 0
	s_load_dword s50, s[34:35], 0x88
	s_cselect_b32 s49, -1, 0
	s_getpc_b64 s[4:5]
	s_add_u32 s4, s4, .str.4@rel32@lo+4
	s_addc_u32 s5, s5, .str.4@rel32@hi+12
	v_mov_b32_e32 v44, 0
	v_mul_f32_e32 v5, 0x4f7ffffe, v2
	v_mul_f32_e32 v6, 0x4f7ffffe, v3
	s_cmp_lg_u64 s[4:5], 0
	v_mov_b32_e32 v46, 1
	s_cselect_b32 s60, -1, 0
	v_cvt_u32_f32_e32 v7, v5
	v_cvt_f64_i32_e32 v[0:1], v0
	v_cvt_u32_f32_e32 v6, v6
	s_cmp_gt_i32 s54, 0
	v_mov_b32_e32 v68, v44
	s_cselect_b32 s61, -1, 0
	s_sub_i32 s4, 0, s54
	v_mul_lo_u32 v4, v4, v6
	v_mul_lo_u32 v5, s4, v7
	v_add_co_u32 v69, s4, s46, v47
	v_cmp_gt_i64_e64 s39, s[54:55], v[67:68]
	v_cmp_lt_u32_e64 s36, v67, v42
	v_cmp_ne_u32_e64 s37, 0, v78
	v_add_co_ci_u32_e64 v70, null, s47, 0, s4
	v_mul_hi_u32 v8, v7, v5
	v_mul_hi_u32 v9, v6, v4
	v_mad_u64_u32 v[4:5], null, v67, 56, v[40:41]
	v_cmp_eq_u32_e64 s38, 0, v67
	v_mov_b32_e32 v82, -1
	v_mbcnt_lo_u32_b32 v83, -1, 0
	v_mul_f64 v[2:3], v[0:1], s[8:9]
	v_mul_f64 v[0:1], v[0:1], s[10:11]
	v_add_nc_u32_e32 v80, v7, v8
	v_add_co_u32 v75, vcc_lo, v4, 8
	v_add_nc_u32_e32 v81, v6, v9
	v_add_co_ci_u32_e64 v76, null, 0, v5, vcc_lo
	v_mov_b32_e32 v4, s6
	v_mov_b32_e32 v45, 2
	;; [unrolled: 1-line block ×7, first 2 shown]
	s_mov_b32 s51, 32
	s_mov_b32 s58, 48
	;; [unrolled: 1-line block ×5, first 2 shown]
	v_max_f64 v[71:72], v[2:3], 2.0
	v_max_f64 v[73:74], v[0:1], 2.0
	s_branch .LBB1_13
.LBB1_11:                               ;   in Loop: Header=BB1_13 Depth=1
	s_or_b32 exec_lo, exec_lo, s6
	s_orn2_b32 s8, s4, exec_lo
.LBB1_12:                               ;   in Loop: Header=BB1_13 Depth=1
	s_or_b32 exec_lo, exec_lo, s5
	s_and_b32 s4, exec_lo, s8
	s_or_b32 s62, s4, s62
	s_andn2_b32 exec_lo, exec_lo, s62
	s_cbranch_execz .LBB1_705
.LBB1_13:                               ; =>This Loop Header: Depth=1
                                        ;     Child Loop BB1_15 Depth 2
                                        ;     Child Loop BB1_20 Depth 2
                                        ;       Child Loop BB1_34 Depth 3
                                        ;         Child Loop BB1_38 Depth 4
                                        ;         Child Loop BB1_46 Depth 4
                                        ;         Child Loop BB1_55 Depth 4
                                        ;         Child Loop BB1_60 Depth 4
                                        ;         Child Loop BB1_144 Depth 4
                                        ;         Child Loop BB1_152 Depth 4
                                        ;         Child Loop BB1_161 Depth 4
                                        ;         Child Loop BB1_166 Depth 4
                                        ;         Child Loop BB1_64 Depth 4
                                        ;           Child Loop BB1_67 Depth 5
                                        ;           Child Loop BB1_74 Depth 5
	;; [unrolled: 1-line block ×11, first 2 shown]
                                        ;     Child Loop BB1_214 Depth 2
                                        ;       Child Loop BB1_323 Depth 3
                                        ;       Child Loop BB1_331 Depth 3
	;; [unrolled: 1-line block ×9, first 2 shown]
                                        ;         Child Loop BB1_424 Depth 4
                                        ;         Child Loop BB1_431 Depth 4
	;; [unrolled: 1-line block ×11, first 2 shown]
                                        ;     Child Loop BB1_560 Depth 2
                                        ;     Child Loop BB1_563 Depth 2
	;; [unrolled: 1-line block ×3, first 2 shown]
                                        ;       Child Loop BB1_576 Depth 3
                                        ;       Child Loop BB1_595 Depth 3
	;; [unrolled: 1-line block ×3, first 2 shown]
                                        ;         Child Loop BB1_606 Depth 4
                                        ;       Child Loop BB1_620 Depth 3
                                        ;       Child Loop BB1_639 Depth 3
	;; [unrolled: 1-line block ×3, first 2 shown]
                                        ;         Child Loop BB1_650 Depth 4
                                        ;     Child Loop BB1_691 Depth 2
	s_and_saveexec_b32 s5, s36
	s_cbranch_execz .LBB1_16
; %bb.14:                               ;   in Loop: Header=BB1_13 Depth=1
	v_mov_b32_e32 v0, v75
	v_mov_b32_e32 v1, v76
	;; [unrolled: 1-line block ×3, first 2 shown]
	s_mov_b32 s6, 0
.LBB1_15:                               ;   Parent Loop BB1_13 Depth=1
                                        ; =>  This Inner Loop Header: Depth=2
	v_add_nc_u32_e32 v2, 32, v2
	global_store_dword v[0:1], v82, off
	v_add_co_u32 v0, s4, 0x700, v0
	v_add_co_ci_u32_e64 v1, null, 0, v1, s4
	v_cmp_ge_u32_e32 vcc_lo, v2, v42
	s_or_b32 s6, vcc_lo, s6
	s_andn2_b32 exec_lo, exec_lo, s6
	s_cbranch_execnz .LBB1_15
.LBB1_16:                               ;   in Loop: Header=BB1_13 Depth=1
	s_or_b32 exec_lo, exec_lo, s5
	s_and_saveexec_b32 s63, s37
	s_cbranch_execz .LBB1_210
; %bb.17:                               ;   in Loop: Header=BB1_13 Depth=1
	v_mov_b32_e32 v88, 0
	s_mov_b32 s64, 0
	s_mov_b32 s65, 0
	s_branch .LBB1_20
.LBB1_18:                               ;   in Loop: Header=BB1_20 Depth=2
	s_or_b32 exec_lo, exec_lo, s67
	v_add_nc_u32_e32 v88, v89, v88
.LBB1_19:                               ;   in Loop: Header=BB1_20 Depth=2
	s_or_b32 exec_lo, exec_lo, s66
	s_add_i32 s65, s65, 1
	v_cmp_eq_u32_e32 vcc_lo, s65, v78
	s_or_b32 s64, vcc_lo, s64
	s_andn2_b32 exec_lo, exec_lo, s64
	s_cbranch_execz .LBB1_210
.LBB1_20:                               ;   Parent Loop BB1_13 Depth=1
                                        ; =>  This Loop Header: Depth=2
                                        ;       Child Loop BB1_34 Depth 3
                                        ;         Child Loop BB1_38 Depth 4
                                        ;         Child Loop BB1_46 Depth 4
	;; [unrolled: 1-line block ×9, first 2 shown]
                                        ;           Child Loop BB1_67 Depth 5
                                        ;           Child Loop BB1_74 Depth 5
	;; [unrolled: 1-line block ×11, first 2 shown]
	s_cmp_lg_u32 s65, 0
	s_cbranch_scc0 .LBB1_23
; %bb.21:                               ;   in Loop: Header=BB1_20 Depth=2
	global_load_dword v0, v[69:70], off
	s_waitcnt vmcnt(0)
	v_sub_nc_u32_e32 v0, v0, v78
	v_add_nc_u32_e32 v43, s65, v0
	v_lshlrev_b64 v[0:1], 2, v[43:44]
	v_add_nc_u32_e32 v43, -1, v43
	v_lshlrev_b64 v[2:3], 2, v[43:44]
	v_add_co_u32 v0, vcc_lo, s44, v0
	v_add_co_ci_u32_e64 v1, null, s45, v1, vcc_lo
	v_add_co_u32 v2, vcc_lo, s44, v2
	v_add_co_ci_u32_e64 v3, null, s45, v3, vcc_lo
	s_clause 0x1
	global_load_dword v0, v[0:1], off
	global_load_dword v1, v[2:3], off
	s_waitcnt vmcnt(0)
	v_sub_nc_u32_e32 v89, v0, v1
	s_cbranch_execz .LBB1_24
; %bb.22:                               ;   in Loop: Header=BB1_20 Depth=2
	s_mov_b32 s66, exec_lo
	v_cmpx_ge_i32_e64 v89, v4
	s_cbranch_execz .LBB1_19
	s_branch .LBB1_31
.LBB1_23:                               ;   in Loop: Header=BB1_20 Depth=2
                                        ; implicit-def: $vgpr89
.LBB1_24:                               ;   in Loop: Header=BB1_20 Depth=2
                                        ; implicit-def: $vgpr89
	s_and_saveexec_b32 s4, s33
	s_xor_b32 s4, exec_lo, s4
	s_cbranch_execz .LBB1_28
; %bb.25:                               ;   in Loop: Header=BB1_20 Depth=2
	global_load_dwordx2 v[0:1], v[69:70], off offset:-4
	s_mov_b32 s5, exec_lo
	s_waitcnt vmcnt(0)
	v_sub_nc_u32_e32 v43, v1, v78
	v_lshlrev_b64 v[1:2], 2, v[43:44]
	v_add_co_u32 v1, vcc_lo, s44, v1
	v_add_co_ci_u32_e64 v2, null, s45, v2, vcc_lo
	global_load_dword v89, v[1:2], off
	v_cmpx_ne_u32_e32 0, v0
	s_cbranch_execz .LBB1_27
; %bb.26:                               ;   in Loop: Header=BB1_20 Depth=2
	v_add_nc_u32_e32 v43, -1, v0
	v_lshlrev_b64 v[0:1], 2, v[43:44]
	v_add_co_u32 v0, vcc_lo, s44, v0
	v_add_co_ci_u32_e64 v1, null, s45, v1, vcc_lo
	global_load_dword v0, v[0:1], off
	s_waitcnt vmcnt(0)
	v_sub_nc_u32_e32 v89, v89, v0
.LBB1_27:                               ;   in Loop: Header=BB1_20 Depth=2
	s_or_b32 exec_lo, exec_lo, s5
.LBB1_28:                               ;   in Loop: Header=BB1_20 Depth=2
	s_andn2_saveexec_b32 s4, s4
	s_cbranch_execz .LBB1_30
; %bb.29:                               ;   in Loop: Header=BB1_20 Depth=2
	global_load_dword v0, v44, s[46:47]
	s_waitcnt vmcnt(0)
	v_sub_nc_u32_e32 v43, v0, v78
	v_lshlrev_b64 v[0:1], 2, v[43:44]
	v_add_co_u32 v0, vcc_lo, s44, v0
	v_add_co_ci_u32_e64 v1, null, s45, v1, vcc_lo
	global_load_dword v89, v[0:1], off
.LBB1_30:                               ;   in Loop: Header=BB1_20 Depth=2
	s_or_b32 exec_lo, exec_lo, s4
	s_mov_b32 s66, exec_lo
	s_waitcnt vmcnt(0)
	v_cmpx_ge_i32_e64 v89, v4
	s_cbranch_execz .LBB1_19
.LBB1_31:                               ;   in Loop: Header=BB1_20 Depth=2
	v_sub_nc_u32_e32 v90, v89, v4
	s_mov_b32 s67, exec_lo
	v_cmpx_lt_i32_e64 v67, v90
	s_cbranch_execz .LBB1_18
; %bb.32:                               ;   in Loop: Header=BB1_20 Depth=2
	v_add_co_u32 v91, vcc_lo, v55, v88
	v_add_co_ci_u32_e64 v92, null, 0, v56, vcc_lo
	v_add_co_u32 v93, vcc_lo, v57, v88
	v_add_co_ci_u32_e64 v94, null, 0, v58, vcc_lo
	v_mov_b32_e32 v95, v67
	s_mov_b32 s68, 0
	s_branch .LBB1_34
.LBB1_33:                               ;   in Loop: Header=BB1_34 Depth=3
	s_or_b32 exec_lo, exec_lo, s5
	v_add_nc_u32_e32 v95, 32, v95
	v_cmp_ge_i32_e32 vcc_lo, v95, v90
	s_or_b32 s68, vcc_lo, s68
	s_andn2_b32 exec_lo, exec_lo, s68
	s_cbranch_execz .LBB1_18
.LBB1_34:                               ;   Parent Loop BB1_13 Depth=1
                                        ;     Parent Loop BB1_20 Depth=2
                                        ; =>    This Loop Header: Depth=3
                                        ;         Child Loop BB1_38 Depth 4
                                        ;         Child Loop BB1_46 Depth 4
	;; [unrolled: 1-line block ×9, first 2 shown]
                                        ;           Child Loop BB1_67 Depth 5
                                        ;           Child Loop BB1_74 Depth 5
                                        ;           Child Loop BB1_81 Depth 5
                                        ;           Child Loop BB1_88 Depth 5
                                        ;           Child Loop BB1_95 Depth 5
                                        ;           Child Loop BB1_102 Depth 5
                                        ;           Child Loop BB1_109 Depth 5
                                        ;           Child Loop BB1_116 Depth 5
                                        ;           Child Loop BB1_124 Depth 5
                                        ;           Child Loop BB1_133 Depth 5
                                        ;           Child Loop BB1_138 Depth 5
	v_add_co_u32 v2, vcc_lo, v91, v95
	v_add_co_ci_u32_e64 v3, null, 0, v92, vcc_lo
	v_mov_b32_e32 v0, v40
	v_mov_b32_e32 v1, v41
	;; [unrolled: 1-line block ×3, first 2 shown]
	s_add_u32 s8, s34, 0xb0
	s_addc_u32 s9, s35, 0
	s_getpc_b64 s[4:5]
	s_add_u32 s4, s4, _Z13ht_get_atomicP6loc_ht9cstr_typej@rel32@lo+4
	s_addc_u32 s5, s5, _Z13ht_get_atomicP6loc_ht9cstr_typej@rel32@hi+12
	s_swappc_b64 s[30:31], s[4:5]
	v_add_nc_u32_e32 v27, v95, v4
	s_mov_b32 s18, exec_lo
	v_cmpx_ge_i32_e64 v27, v89
	s_cbranch_execz .LBB1_167
; %bb.35:                               ;   in Loop: Header=BB1_34 Depth=3
	s_load_dwordx2 s[6:7], s[52:53], 0x50
	v_readfirstlane_b32 s4, v83
	v_mov_b32_e32 v2, 0
	v_mov_b32_e32 v3, 0
	v_cmp_eq_u32_e64 s4, s4, v83
	s_and_saveexec_b32 s5, s4
	s_cbranch_execz .LBB1_41
; %bb.36:                               ;   in Loop: Header=BB1_34 Depth=3
	s_waitcnt lgkmcnt(0)
	global_load_dwordx2 v[7:8], v44, s[6:7] offset:24 glc dlc
	s_waitcnt vmcnt(0)
	buffer_gl1_inv
	buffer_gl0_inv
	s_clause 0x1
	global_load_dwordx2 v[2:3], v44, s[6:7] offset:40
	global_load_dwordx2 v[5:6], v44, s[6:7]
	s_mov_b32 s8, exec_lo
	s_waitcnt vmcnt(1)
	v_and_b32_e32 v3, v3, v8
	v_and_b32_e32 v2, v2, v7
	v_mul_lo_u32 v3, v3, 24
	v_mul_hi_u32 v9, v2, 24
	v_mul_lo_u32 v2, v2, 24
	v_add_nc_u32_e32 v3, v9, v3
	s_waitcnt vmcnt(0)
	v_add_co_u32 v2, vcc_lo, v5, v2
	v_add_co_ci_u32_e64 v3, null, v6, v3, vcc_lo
	global_load_dwordx2 v[5:6], v[2:3], off glc dlc
	s_waitcnt vmcnt(0)
	global_atomic_cmpswap_x2 v[2:3], v44, v[5:8], s[6:7] offset:24 glc
	s_waitcnt vmcnt(0)
	buffer_gl1_inv
	buffer_gl0_inv
	v_cmpx_ne_u64_e64 v[2:3], v[7:8]
	s_cbranch_execz .LBB1_40
; %bb.37:                               ;   in Loop: Header=BB1_34 Depth=3
	s_mov_b32 s9, 0
	.p2align	6
.LBB1_38:                               ;   Parent Loop BB1_13 Depth=1
                                        ;     Parent Loop BB1_20 Depth=2
                                        ;       Parent Loop BB1_34 Depth=3
                                        ; =>      This Inner Loop Header: Depth=4
	s_sleep 1
	s_clause 0x1
	global_load_dwordx2 v[5:6], v44, s[6:7] offset:40
	global_load_dwordx2 v[9:10], v44, s[6:7]
	v_mov_b32_e32 v8, v3
	v_mov_b32_e32 v7, v2
	s_waitcnt vmcnt(1)
	v_and_b32_e32 v2, v5, v7
	v_and_b32_e32 v5, v6, v8
	s_waitcnt vmcnt(0)
	v_mad_u64_u32 v[2:3], null, v2, 24, v[9:10]
	v_mad_u64_u32 v[5:6], null, v5, 24, v[3:4]
	v_mov_b32_e32 v3, v5
	global_load_dwordx2 v[5:6], v[2:3], off glc dlc
	s_waitcnt vmcnt(0)
	global_atomic_cmpswap_x2 v[2:3], v44, v[5:8], s[6:7] offset:24 glc
	s_waitcnt vmcnt(0)
	buffer_gl1_inv
	buffer_gl0_inv
	v_cmp_eq_u64_e32 vcc_lo, v[2:3], v[7:8]
	s_or_b32 s9, vcc_lo, s9
	s_andn2_b32 exec_lo, exec_lo, s9
	s_cbranch_execnz .LBB1_38
; %bb.39:                               ;   in Loop: Header=BB1_34 Depth=3
	s_or_b32 exec_lo, exec_lo, s9
.LBB1_40:                               ;   in Loop: Header=BB1_34 Depth=3
	s_or_b32 exec_lo, exec_lo, s8
.LBB1_41:                               ;   in Loop: Header=BB1_34 Depth=3
	s_or_b32 exec_lo, exec_lo, s5
	s_waitcnt lgkmcnt(0)
	s_clause 0x1
	global_load_dwordx2 v[9:10], v44, s[6:7] offset:40
	global_load_dwordx4 v[5:8], v44, s[6:7]
	v_readfirstlane_b32 s9, v3
	v_readfirstlane_b32 s8, v2
	s_mov_b32 s5, exec_lo
	s_waitcnt vmcnt(1)
	v_readfirstlane_b32 s10, v9
	v_readfirstlane_b32 s11, v10
	s_and_b64 s[10:11], s[10:11], s[8:9]
	s_mul_i32 s12, s11, 24
	s_mul_hi_u32 s13, s10, 24
	s_mul_i32 s14, s10, 24
	s_add_i32 s13, s13, s12
	s_waitcnt vmcnt(0)
	v_add_co_u32 v2, vcc_lo, v5, s14
	v_add_co_ci_u32_e64 v3, null, s13, v6, vcc_lo
	s_and_saveexec_b32 s12, s4
	s_cbranch_execz .LBB1_43
; %bb.42:                               ;   in Loop: Header=BB1_34 Depth=3
	v_mov_b32_e32 v43, s5
	global_store_dwordx4 v[2:3], v[43:46], off offset:8
.LBB1_43:                               ;   in Loop: Header=BB1_34 Depth=3
	s_or_b32 exec_lo, exec_lo, s12
	s_lshl_b64 s[10:11], s[10:11], 12
	s_mov_b32 s41, s40
	v_add_co_u32 v11, vcc_lo, v7, s10
	v_add_co_ci_u32_e64 v12, null, s11, v8, vcc_lo
	s_mov_b32 s42, s40
	s_mov_b32 s43, s40
	v_lshlrev_b32_e32 v28, 6, v83
	v_mov_b32_e32 v52, v44
	v_mov_b32_e32 v53, v44
	;; [unrolled: 1-line block ×3, first 2 shown]
	v_readfirstlane_b32 s10, v11
	v_readfirstlane_b32 s11, v12
	v_mov_b32_e32 v7, s40
	v_mov_b32_e32 v8, s41
	;; [unrolled: 1-line block ×4, first 2 shown]
	global_store_dwordx4 v28, v[51:54], s[10:11]
	global_store_dwordx4 v28, v[7:10], s[10:11] offset:16
	global_store_dwordx4 v28, v[7:10], s[10:11] offset:32
	;; [unrolled: 1-line block ×3, first 2 shown]
	s_and_saveexec_b32 s5, s4
	s_cbranch_execz .LBB1_51
; %bb.44:                               ;   in Loop: Header=BB1_34 Depth=3
	s_clause 0x1
	global_load_dwordx2 v[15:16], v44, s[6:7] offset:32 glc dlc
	global_load_dwordx2 v[7:8], v44, s[6:7] offset:40
	v_mov_b32_e32 v13, s8
	v_mov_b32_e32 v14, s9
	s_mov_b32 s10, exec_lo
	s_waitcnt vmcnt(0)
	v_and_b32_e32 v8, s9, v8
	v_and_b32_e32 v7, s8, v7
	v_mul_lo_u32 v8, v8, 24
	v_mul_hi_u32 v9, v7, 24
	v_mul_lo_u32 v7, v7, 24
	v_add_nc_u32_e32 v8, v9, v8
	v_add_co_u32 v9, vcc_lo, v5, v7
	v_add_co_ci_u32_e64 v10, null, v6, v8, vcc_lo
	global_store_dwordx2 v[9:10], v[15:16], off
	s_waitcnt_vscnt null, 0x0
	global_atomic_cmpswap_x2 v[7:8], v44, v[13:16], s[6:7] offset:32 glc
	s_waitcnt vmcnt(0)
	v_cmpx_ne_u64_e64 v[7:8], v[15:16]
	s_cbranch_execz .LBB1_47
; %bb.45:                               ;   in Loop: Header=BB1_34 Depth=3
	s_mov_b32 s11, 0
.LBB1_46:                               ;   Parent Loop BB1_13 Depth=1
                                        ;     Parent Loop BB1_20 Depth=2
                                        ;       Parent Loop BB1_34 Depth=3
                                        ; =>      This Inner Loop Header: Depth=4
	v_mov_b32_e32 v5, s8
	v_mov_b32_e32 v6, s9
	s_sleep 1
	global_store_dwordx2 v[9:10], v[7:8], off
	s_waitcnt_vscnt null, 0x0
	global_atomic_cmpswap_x2 v[5:6], v44, v[5:8], s[6:7] offset:32 glc
	s_waitcnt vmcnt(0)
	v_cmp_eq_u64_e32 vcc_lo, v[5:6], v[7:8]
	v_mov_b32_e32 v8, v6
	v_mov_b32_e32 v7, v5
	s_or_b32 s11, vcc_lo, s11
	s_andn2_b32 exec_lo, exec_lo, s11
	s_cbranch_execnz .LBB1_46
.LBB1_47:                               ;   in Loop: Header=BB1_34 Depth=3
	s_or_b32 exec_lo, exec_lo, s10
	global_load_dwordx2 v[5:6], v44, s[6:7] offset:16
	s_mov_b32 s11, exec_lo
	s_mov_b32 s10, exec_lo
	v_mbcnt_lo_u32_b32 v7, s11, 0
	v_cmpx_eq_u32_e32 0, v7
	s_cbranch_execz .LBB1_49
; %bb.48:                               ;   in Loop: Header=BB1_34 Depth=3
	s_bcnt1_i32_b32 s11, s11
	v_mov_b32_e32 v43, s11
	s_waitcnt vmcnt(0)
	global_atomic_add_x2 v[5:6], v[43:44], off offset:8
.LBB1_49:                               ;   in Loop: Header=BB1_34 Depth=3
	s_or_b32 exec_lo, exec_lo, s10
	s_waitcnt vmcnt(0)
	global_load_dwordx2 v[7:8], v[5:6], off offset:16
	s_waitcnt vmcnt(0)
	v_cmp_eq_u64_e32 vcc_lo, 0, v[7:8]
	s_cbranch_vccnz .LBB1_51
; %bb.50:                               ;   in Loop: Header=BB1_34 Depth=3
	global_load_dword v43, v[5:6], off offset:24
	s_waitcnt vmcnt(0)
	v_readfirstlane_b32 s10, v43
	s_waitcnt_vscnt null, 0x0
	global_store_dwordx2 v[7:8], v[43:44], off
	s_and_b32 m0, s10, 0x7fffff
	s_sendmsg sendmsg(MSG_INTERRUPT)
.LBB1_51:                               ;   in Loop: Header=BB1_34 Depth=3
	s_or_b32 exec_lo, exec_lo, s5
	v_add_co_u32 v5, vcc_lo, v11, v28
	v_add_co_ci_u32_e64 v6, null, 0, v12, vcc_lo
	s_branch .LBB1_55
	.p2align	6
.LBB1_52:                               ;   in Loop: Header=BB1_55 Depth=4
	s_or_b32 exec_lo, exec_lo, s5
	v_readfirstlane_b32 s5, v7
	s_cmp_eq_u32 s5, 0
	s_cbranch_scc1 .LBB1_54
; %bb.53:                               ;   in Loop: Header=BB1_55 Depth=4
	s_sleep 1
	s_cbranch_execnz .LBB1_55
	s_branch .LBB1_57
	.p2align	6
.LBB1_54:                               ;   in Loop: Header=BB1_34 Depth=3
	s_branch .LBB1_57
.LBB1_55:                               ;   Parent Loop BB1_13 Depth=1
                                        ;     Parent Loop BB1_20 Depth=2
                                        ;       Parent Loop BB1_34 Depth=3
                                        ; =>      This Inner Loop Header: Depth=4
	v_mov_b32_e32 v7, 1
	s_and_saveexec_b32 s5, s4
	s_cbranch_execz .LBB1_52
; %bb.56:                               ;   in Loop: Header=BB1_55 Depth=4
	global_load_dword v7, v[2:3], off offset:20 glc dlc
	s_waitcnt vmcnt(0)
	buffer_gl1_inv
	buffer_gl0_inv
	v_and_b32_e32 v7, 1, v7
	s_branch .LBB1_52
.LBB1_57:                               ;   in Loop: Header=BB1_34 Depth=3
	global_load_dwordx2 v[5:6], v[5:6], off
	s_and_saveexec_b32 s10, s4
	s_cbranch_execz .LBB1_61
; %bb.58:                               ;   in Loop: Header=BB1_34 Depth=3
	s_clause 0x2
	global_load_dwordx2 v[2:3], v44, s[6:7] offset:40
	global_load_dwordx2 v[11:12], v44, s[6:7] offset:24 glc dlc
	global_load_dwordx2 v[7:8], v44, s[6:7]
	s_waitcnt vmcnt(2)
	v_readfirstlane_b32 s12, v2
	v_readfirstlane_b32 s13, v3
	s_add_u32 s11, s12, 1
	s_addc_u32 s14, s13, 0
	s_add_u32 s4, s11, s8
	s_addc_u32 s5, s14, s9
	s_cmp_eq_u64 s[4:5], 0
	s_cselect_b32 s5, s14, s5
	s_cselect_b32 s4, s11, s4
	v_mov_b32_e32 v10, s5
	s_and_b64 s[8:9], s[4:5], s[12:13]
	v_mov_b32_e32 v9, s4
	s_mul_i32 s9, s9, 24
	s_mul_hi_u32 s11, s8, 24
	s_mul_i32 s8, s8, 24
	s_add_i32 s11, s11, s9
	s_waitcnt vmcnt(0)
	v_add_co_u32 v2, vcc_lo, v7, s8
	v_add_co_ci_u32_e64 v3, null, s11, v8, vcc_lo
	global_store_dwordx2 v[2:3], v[11:12], off
	s_waitcnt_vscnt null, 0x0
	global_atomic_cmpswap_x2 v[9:10], v44, v[9:12], s[6:7] offset:24 glc
	s_waitcnt vmcnt(0)
	v_cmp_ne_u64_e32 vcc_lo, v[9:10], v[11:12]
	s_and_b32 exec_lo, exec_lo, vcc_lo
	s_cbranch_execz .LBB1_61
; %bb.59:                               ;   in Loop: Header=BB1_34 Depth=3
	s_mov_b32 s8, 0
.LBB1_60:                               ;   Parent Loop BB1_13 Depth=1
                                        ;     Parent Loop BB1_20 Depth=2
                                        ;       Parent Loop BB1_34 Depth=3
                                        ; =>      This Inner Loop Header: Depth=4
	v_mov_b32_e32 v7, s4
	v_mov_b32_e32 v8, s5
	s_sleep 1
	global_store_dwordx2 v[2:3], v[9:10], off
	s_waitcnt_vscnt null, 0x0
	global_atomic_cmpswap_x2 v[7:8], v44, v[7:10], s[6:7] offset:24 glc
	s_waitcnt vmcnt(0)
	v_cmp_eq_u64_e32 vcc_lo, v[7:8], v[9:10]
	v_mov_b32_e32 v10, v8
	v_mov_b32_e32 v9, v7
	s_or_b32 s8, vcc_lo, s8
	s_andn2_b32 exec_lo, exec_lo, s8
	s_cbranch_execnz .LBB1_60
.LBB1_61:                               ;   in Loop: Header=BB1_34 Depth=3
	s_or_b32 exec_lo, exec_lo, s10
	s_and_b32 vcc_lo, exec_lo, s49
	s_cbranch_vccz .LBB1_140
; %bb.62:                               ;   in Loop: Header=BB1_34 Depth=3
	s_waitcnt vmcnt(0)
	v_and_b32_e32 v7, -3, v5
	v_mov_b32_e32 v8, v6
	s_mov_b64 s[10:11], 45
	s_getpc_b64 s[8:9]
	s_add_u32 s8, s8, .str.3@rel32@lo+4
	s_addc_u32 s9, s9, .str.3@rel32@hi+12
	s_branch .LBB1_64
.LBB1_63:                               ;   in Loop: Header=BB1_64 Depth=4
	s_or_b32 exec_lo, exec_lo, s16
	s_sub_u32 s10, s10, s12
	s_subb_u32 s11, s11, s13
	s_add_u32 s8, s8, s12
	s_addc_u32 s9, s9, s13
	s_cmp_lg_u64 s[10:11], 0
	s_cbranch_scc0 .LBB1_139
.LBB1_64:                               ;   Parent Loop BB1_13 Depth=1
                                        ;     Parent Loop BB1_20 Depth=2
                                        ;       Parent Loop BB1_34 Depth=3
                                        ; =>      This Loop Header: Depth=4
                                        ;           Child Loop BB1_67 Depth 5
                                        ;           Child Loop BB1_74 Depth 5
	;; [unrolled: 1-line block ×11, first 2 shown]
	v_cmp_lt_u64_e64 s4, s[10:11], 56
	v_cmp_gt_u64_e64 s14, s[10:11], 7
	s_and_b32 s4, s4, exec_lo
	s_cselect_b32 s13, s11, 0
	s_cselect_b32 s12, s10, 56
	s_add_u32 s4, s8, 8
	s_addc_u32 s5, s9, 0
	s_and_b32 vcc_lo, exec_lo, s14
	s_cbranch_vccnz .LBB1_69
; %bb.65:                               ;   in Loop: Header=BB1_64 Depth=4
	s_waitcnt vmcnt(0)
	v_mov_b32_e32 v9, 0
	v_mov_b32_e32 v10, 0
	s_cmp_eq_u64 s[10:11], 0
	s_cbranch_scc1 .LBB1_68
; %bb.66:                               ;   in Loop: Header=BB1_64 Depth=4
	s_lshl_b64 s[4:5], s[12:13], 3
	s_mov_b64 s[14:15], 0
	s_mov_b64 s[16:17], s[8:9]
.LBB1_67:                               ;   Parent Loop BB1_13 Depth=1
                                        ;     Parent Loop BB1_20 Depth=2
                                        ;       Parent Loop BB1_34 Depth=3
                                        ;         Parent Loop BB1_64 Depth=4
                                        ; =>        This Inner Loop Header: Depth=5
	global_load_ubyte v2, v44, s[16:17]
	s_waitcnt vmcnt(0)
	v_and_b32_e32 v43, 0xffff, v2
	v_lshlrev_b64 v[2:3], s14, v[43:44]
	s_add_u32 s14, s14, 8
	s_addc_u32 s15, s15, 0
	s_add_u32 s16, s16, 1
	s_addc_u32 s17, s17, 0
	s_cmp_lg_u32 s4, s14
	v_or_b32_e32 v9, v2, v9
	v_or_b32_e32 v10, v3, v10
	s_cbranch_scc1 .LBB1_67
.LBB1_68:                               ;   in Loop: Header=BB1_64 Depth=4
	s_mov_b64 s[4:5], s[8:9]
	s_mov_b32 s19, 0
	s_cbranch_execz .LBB1_70
	s_branch .LBB1_71
.LBB1_69:                               ;   in Loop: Header=BB1_64 Depth=4
	s_mov_b32 s19, 0
.LBB1_70:                               ;   in Loop: Header=BB1_64 Depth=4
	global_load_dwordx2 v[9:10], v44, s[8:9]
	s_add_i32 s19, s12, -8
.LBB1_71:                               ;   in Loop: Header=BB1_64 Depth=4
	s_add_u32 s14, s4, 8
	s_addc_u32 s15, s5, 0
	s_cmp_gt_u32 s19, 7
	s_cbranch_scc1 .LBB1_76
; %bb.72:                               ;   in Loop: Header=BB1_64 Depth=4
	v_mov_b32_e32 v11, 0
	v_mov_b32_e32 v12, 0
	s_cmp_eq_u32 s19, 0
	s_cbranch_scc1 .LBB1_75
; %bb.73:                               ;   in Loop: Header=BB1_64 Depth=4
	s_mov_b64 s[14:15], 0
	s_mov_b64 s[16:17], 0
.LBB1_74:                               ;   Parent Loop BB1_13 Depth=1
                                        ;     Parent Loop BB1_20 Depth=2
                                        ;       Parent Loop BB1_34 Depth=3
                                        ;         Parent Loop BB1_64 Depth=4
                                        ; =>        This Inner Loop Header: Depth=5
	s_add_u32 s20, s4, s16
	s_addc_u32 s21, s5, s17
	s_add_u32 s16, s16, 1
	global_load_ubyte v2, v44, s[20:21]
	s_addc_u32 s17, s17, 0
	s_waitcnt vmcnt(0)
	v_and_b32_e32 v43, 0xffff, v2
	v_lshlrev_b64 v[2:3], s14, v[43:44]
	s_add_u32 s14, s14, 8
	s_addc_u32 s15, s15, 0
	s_cmp_lg_u32 s19, s16
	v_or_b32_e32 v11, v2, v11
	v_or_b32_e32 v12, v3, v12
	s_cbranch_scc1 .LBB1_74
.LBB1_75:                               ;   in Loop: Header=BB1_64 Depth=4
	s_mov_b64 s[14:15], s[4:5]
	s_mov_b32 s20, 0
	s_cbranch_execz .LBB1_77
	s_branch .LBB1_78
.LBB1_76:                               ;   in Loop: Header=BB1_64 Depth=4
                                        ; implicit-def: $vgpr11_vgpr12
	s_mov_b32 s20, 0
.LBB1_77:                               ;   in Loop: Header=BB1_64 Depth=4
	global_load_dwordx2 v[11:12], v44, s[4:5]
	s_add_i32 s20, s19, -8
.LBB1_78:                               ;   in Loop: Header=BB1_64 Depth=4
	s_add_u32 s4, s14, 8
	s_addc_u32 s5, s15, 0
	s_cmp_gt_u32 s20, 7
	s_cbranch_scc1 .LBB1_83
; %bb.79:                               ;   in Loop: Header=BB1_64 Depth=4
	v_mov_b32_e32 v13, 0
	v_mov_b32_e32 v14, 0
	s_cmp_eq_u32 s20, 0
	s_cbranch_scc1 .LBB1_82
; %bb.80:                               ;   in Loop: Header=BB1_64 Depth=4
	s_mov_b64 s[4:5], 0
	s_mov_b64 s[16:17], 0
.LBB1_81:                               ;   Parent Loop BB1_13 Depth=1
                                        ;     Parent Loop BB1_20 Depth=2
                                        ;       Parent Loop BB1_34 Depth=3
                                        ;         Parent Loop BB1_64 Depth=4
                                        ; =>        This Inner Loop Header: Depth=5
	s_add_u32 s22, s14, s16
	s_addc_u32 s23, s15, s17
	s_add_u32 s16, s16, 1
	global_load_ubyte v2, v44, s[22:23]
	s_addc_u32 s17, s17, 0
	s_waitcnt vmcnt(0)
	v_and_b32_e32 v43, 0xffff, v2
	v_lshlrev_b64 v[2:3], s4, v[43:44]
	s_add_u32 s4, s4, 8
	s_addc_u32 s5, s5, 0
	s_cmp_lg_u32 s20, s16
	v_or_b32_e32 v13, v2, v13
	v_or_b32_e32 v14, v3, v14
	s_cbranch_scc1 .LBB1_81
.LBB1_82:                               ;   in Loop: Header=BB1_64 Depth=4
	s_mov_b64 s[4:5], s[14:15]
	s_mov_b32 s19, 0
	s_cbranch_execz .LBB1_84
	s_branch .LBB1_85
.LBB1_83:                               ;   in Loop: Header=BB1_64 Depth=4
	s_mov_b32 s19, 0
.LBB1_84:                               ;   in Loop: Header=BB1_64 Depth=4
	global_load_dwordx2 v[13:14], v44, s[14:15]
	s_add_i32 s19, s20, -8
.LBB1_85:                               ;   in Loop: Header=BB1_64 Depth=4
	s_add_u32 s14, s4, 8
	s_addc_u32 s15, s5, 0
	s_cmp_gt_u32 s19, 7
	s_cbranch_scc1 .LBB1_90
; %bb.86:                               ;   in Loop: Header=BB1_64 Depth=4
	v_mov_b32_e32 v15, 0
	v_mov_b32_e32 v16, 0
	s_cmp_eq_u32 s19, 0
	s_cbranch_scc1 .LBB1_89
; %bb.87:                               ;   in Loop: Header=BB1_64 Depth=4
	s_mov_b64 s[14:15], 0
	s_mov_b64 s[16:17], 0
.LBB1_88:                               ;   Parent Loop BB1_13 Depth=1
                                        ;     Parent Loop BB1_20 Depth=2
                                        ;       Parent Loop BB1_34 Depth=3
                                        ;         Parent Loop BB1_64 Depth=4
                                        ; =>        This Inner Loop Header: Depth=5
	s_add_u32 s20, s4, s16
	s_addc_u32 s21, s5, s17
	s_add_u32 s16, s16, 1
	global_load_ubyte v2, v44, s[20:21]
	s_addc_u32 s17, s17, 0
	s_waitcnt vmcnt(0)
	v_and_b32_e32 v43, 0xffff, v2
	v_lshlrev_b64 v[2:3], s14, v[43:44]
	s_add_u32 s14, s14, 8
	s_addc_u32 s15, s15, 0
	s_cmp_lg_u32 s19, s16
	v_or_b32_e32 v15, v2, v15
	v_or_b32_e32 v16, v3, v16
	s_cbranch_scc1 .LBB1_88
.LBB1_89:                               ;   in Loop: Header=BB1_64 Depth=4
	s_mov_b64 s[14:15], s[4:5]
	s_mov_b32 s20, 0
	s_cbranch_execz .LBB1_91
	s_branch .LBB1_92
.LBB1_90:                               ;   in Loop: Header=BB1_64 Depth=4
                                        ; implicit-def: $vgpr15_vgpr16
	s_mov_b32 s20, 0
.LBB1_91:                               ;   in Loop: Header=BB1_64 Depth=4
	global_load_dwordx2 v[15:16], v44, s[4:5]
	s_add_i32 s20, s19, -8
.LBB1_92:                               ;   in Loop: Header=BB1_64 Depth=4
	s_add_u32 s4, s14, 8
	s_addc_u32 s5, s15, 0
	s_cmp_gt_u32 s20, 7
	s_cbranch_scc1 .LBB1_97
; %bb.93:                               ;   in Loop: Header=BB1_64 Depth=4
	v_mov_b32_e32 v17, 0
	v_mov_b32_e32 v18, 0
	s_cmp_eq_u32 s20, 0
	s_cbranch_scc1 .LBB1_96
; %bb.94:                               ;   in Loop: Header=BB1_64 Depth=4
	s_mov_b64 s[4:5], 0
	s_mov_b64 s[16:17], 0
.LBB1_95:                               ;   Parent Loop BB1_13 Depth=1
                                        ;     Parent Loop BB1_20 Depth=2
                                        ;       Parent Loop BB1_34 Depth=3
                                        ;         Parent Loop BB1_64 Depth=4
                                        ; =>        This Inner Loop Header: Depth=5
	s_add_u32 s22, s14, s16
	s_addc_u32 s23, s15, s17
	s_add_u32 s16, s16, 1
	global_load_ubyte v2, v44, s[22:23]
	s_addc_u32 s17, s17, 0
	s_waitcnt vmcnt(0)
	v_and_b32_e32 v43, 0xffff, v2
	v_lshlrev_b64 v[2:3], s4, v[43:44]
	s_add_u32 s4, s4, 8
	s_addc_u32 s5, s5, 0
	s_cmp_lg_u32 s20, s16
	v_or_b32_e32 v17, v2, v17
	v_or_b32_e32 v18, v3, v18
	s_cbranch_scc1 .LBB1_95
.LBB1_96:                               ;   in Loop: Header=BB1_64 Depth=4
	s_mov_b64 s[4:5], s[14:15]
	s_mov_b32 s19, 0
	s_cbranch_execz .LBB1_98
	s_branch .LBB1_99
.LBB1_97:                               ;   in Loop: Header=BB1_64 Depth=4
	s_mov_b32 s19, 0
.LBB1_98:                               ;   in Loop: Header=BB1_64 Depth=4
	global_load_dwordx2 v[17:18], v44, s[14:15]
	s_add_i32 s19, s20, -8
.LBB1_99:                               ;   in Loop: Header=BB1_64 Depth=4
	s_add_u32 s14, s4, 8
	s_addc_u32 s15, s5, 0
	s_cmp_gt_u32 s19, 7
	s_cbranch_scc1 .LBB1_104
; %bb.100:                              ;   in Loop: Header=BB1_64 Depth=4
	v_mov_b32_e32 v19, 0
	v_mov_b32_e32 v20, 0
	s_cmp_eq_u32 s19, 0
	s_cbranch_scc1 .LBB1_103
; %bb.101:                              ;   in Loop: Header=BB1_64 Depth=4
	s_mov_b64 s[14:15], 0
	s_mov_b64 s[16:17], 0
.LBB1_102:                              ;   Parent Loop BB1_13 Depth=1
                                        ;     Parent Loop BB1_20 Depth=2
                                        ;       Parent Loop BB1_34 Depth=3
                                        ;         Parent Loop BB1_64 Depth=4
                                        ; =>        This Inner Loop Header: Depth=5
	s_add_u32 s20, s4, s16
	s_addc_u32 s21, s5, s17
	s_add_u32 s16, s16, 1
	global_load_ubyte v2, v44, s[20:21]
	s_addc_u32 s17, s17, 0
	s_waitcnt vmcnt(0)
	v_and_b32_e32 v43, 0xffff, v2
	v_lshlrev_b64 v[2:3], s14, v[43:44]
	s_add_u32 s14, s14, 8
	s_addc_u32 s15, s15, 0
	s_cmp_lg_u32 s19, s16
	v_or_b32_e32 v19, v2, v19
	v_or_b32_e32 v20, v3, v20
	s_cbranch_scc1 .LBB1_102
.LBB1_103:                              ;   in Loop: Header=BB1_64 Depth=4
	s_mov_b64 s[14:15], s[4:5]
	s_mov_b32 s20, 0
	s_cbranch_execz .LBB1_105
	s_branch .LBB1_106
.LBB1_104:                              ;   in Loop: Header=BB1_64 Depth=4
                                        ; implicit-def: $vgpr19_vgpr20
	s_mov_b32 s20, 0
.LBB1_105:                              ;   in Loop: Header=BB1_64 Depth=4
	global_load_dwordx2 v[19:20], v44, s[4:5]
	s_add_i32 s20, s19, -8
.LBB1_106:                              ;   in Loop: Header=BB1_64 Depth=4
	s_cmp_gt_u32 s20, 7
	s_cbranch_scc1 .LBB1_111
; %bb.107:                              ;   in Loop: Header=BB1_64 Depth=4
	v_mov_b32_e32 v21, 0
	v_mov_b32_e32 v22, 0
	s_cmp_eq_u32 s20, 0
	s_cbranch_scc1 .LBB1_110
; %bb.108:                              ;   in Loop: Header=BB1_64 Depth=4
	s_mov_b64 s[4:5], 0
	s_mov_b64 s[16:17], s[14:15]
.LBB1_109:                              ;   Parent Loop BB1_13 Depth=1
                                        ;     Parent Loop BB1_20 Depth=2
                                        ;       Parent Loop BB1_34 Depth=3
                                        ;         Parent Loop BB1_64 Depth=4
                                        ; =>        This Inner Loop Header: Depth=5
	global_load_ubyte v2, v44, s[16:17]
	s_add_i32 s20, s20, -1
	s_waitcnt vmcnt(0)
	v_and_b32_e32 v43, 0xffff, v2
	v_lshlrev_b64 v[2:3], s4, v[43:44]
	s_add_u32 s4, s4, 8
	s_addc_u32 s5, s5, 0
	s_add_u32 s16, s16, 1
	s_addc_u32 s17, s17, 0
	s_cmp_lg_u32 s20, 0
	v_or_b32_e32 v21, v2, v21
	v_or_b32_e32 v22, v3, v22
	s_cbranch_scc1 .LBB1_109
.LBB1_110:                              ;   in Loop: Header=BB1_64 Depth=4
	s_cbranch_execz .LBB1_112
	s_branch .LBB1_113
.LBB1_111:                              ;   in Loop: Header=BB1_64 Depth=4
.LBB1_112:                              ;   in Loop: Header=BB1_64 Depth=4
	global_load_dwordx2 v[21:22], v44, s[14:15]
.LBB1_113:                              ;   in Loop: Header=BB1_64 Depth=4
	v_readfirstlane_b32 s4, v83
	v_mov_b32_e32 v2, 0
	v_mov_b32_e32 v3, 0
	v_cmp_eq_u32_e64 s4, s4, v83
	s_and_saveexec_b32 s5, s4
	s_cbranch_execz .LBB1_119
; %bb.114:                              ;   in Loop: Header=BB1_64 Depth=4
	global_load_dwordx2 v[25:26], v44, s[6:7] offset:24 glc dlc
	s_waitcnt vmcnt(0)
	buffer_gl1_inv
	buffer_gl0_inv
	s_clause 0x1
	global_load_dwordx2 v[2:3], v44, s[6:7] offset:40
	global_load_dwordx2 v[23:24], v44, s[6:7]
	s_mov_b32 s14, exec_lo
	s_waitcnt vmcnt(1)
	v_and_b32_e32 v3, v3, v26
	v_and_b32_e32 v2, v2, v25
	v_mul_lo_u32 v3, v3, 24
	v_mul_hi_u32 v29, v2, 24
	v_mul_lo_u32 v2, v2, 24
	v_add_nc_u32_e32 v3, v29, v3
	s_waitcnt vmcnt(0)
	v_add_co_u32 v2, vcc_lo, v23, v2
	v_add_co_ci_u32_e64 v3, null, v24, v3, vcc_lo
	global_load_dwordx2 v[23:24], v[2:3], off glc dlc
	s_waitcnt vmcnt(0)
	global_atomic_cmpswap_x2 v[2:3], v44, v[23:26], s[6:7] offset:24 glc
	s_waitcnt vmcnt(0)
	buffer_gl1_inv
	buffer_gl0_inv
	v_cmpx_ne_u64_e64 v[2:3], v[25:26]
	s_cbranch_execz .LBB1_118
; %bb.115:                              ;   in Loop: Header=BB1_64 Depth=4
	s_mov_b32 s15, 0
	.p2align	6
.LBB1_116:                              ;   Parent Loop BB1_13 Depth=1
                                        ;     Parent Loop BB1_20 Depth=2
                                        ;       Parent Loop BB1_34 Depth=3
                                        ;         Parent Loop BB1_64 Depth=4
                                        ; =>        This Inner Loop Header: Depth=5
	s_sleep 1
	s_clause 0x1
	global_load_dwordx2 v[23:24], v44, s[6:7] offset:40
	global_load_dwordx2 v[29:30], v44, s[6:7]
	v_mov_b32_e32 v26, v3
	v_mov_b32_e32 v25, v2
	s_waitcnt vmcnt(1)
	v_and_b32_e32 v2, v23, v25
	v_and_b32_e32 v23, v24, v26
	s_waitcnt vmcnt(0)
	v_mad_u64_u32 v[2:3], null, v2, 24, v[29:30]
	v_mad_u64_u32 v[23:24], null, v23, 24, v[3:4]
	v_mov_b32_e32 v3, v23
	global_load_dwordx2 v[23:24], v[2:3], off glc dlc
	s_waitcnt vmcnt(0)
	global_atomic_cmpswap_x2 v[2:3], v44, v[23:26], s[6:7] offset:24 glc
	s_waitcnt vmcnt(0)
	buffer_gl1_inv
	buffer_gl0_inv
	v_cmp_eq_u64_e32 vcc_lo, v[2:3], v[25:26]
	s_or_b32 s15, vcc_lo, s15
	s_andn2_b32 exec_lo, exec_lo, s15
	s_cbranch_execnz .LBB1_116
; %bb.117:                              ;   in Loop: Header=BB1_64 Depth=4
	s_or_b32 exec_lo, exec_lo, s15
.LBB1_118:                              ;   in Loop: Header=BB1_64 Depth=4
	s_or_b32 exec_lo, exec_lo, s14
.LBB1_119:                              ;   in Loop: Header=BB1_64 Depth=4
	s_or_b32 exec_lo, exec_lo, s5
	s_clause 0x1
	global_load_dwordx2 v[29:30], v44, s[6:7] offset:40
	global_load_dwordx4 v[23:26], v44, s[6:7]
	v_readfirstlane_b32 s15, v3
	v_readfirstlane_b32 s14, v2
	s_mov_b32 s5, exec_lo
	s_waitcnt vmcnt(1)
	v_readfirstlane_b32 s16, v29
	v_readfirstlane_b32 s17, v30
	s_and_b64 s[16:17], s[16:17], s[14:15]
	s_mul_i32 s19, s17, 24
	s_mul_hi_u32 s20, s16, 24
	s_mul_i32 s21, s16, 24
	s_add_i32 s20, s20, s19
	s_waitcnt vmcnt(0)
	v_add_co_u32 v2, vcc_lo, v23, s21
	v_add_co_ci_u32_e64 v3, null, s20, v24, vcc_lo
	s_and_saveexec_b32 s19, s4
	s_cbranch_execz .LBB1_121
; %bb.120:                              ;   in Loop: Header=BB1_64 Depth=4
	v_mov_b32_e32 v43, s5
	global_store_dwordx4 v[2:3], v[43:46], off offset:8
.LBB1_121:                              ;   in Loop: Header=BB1_64 Depth=4
	s_or_b32 exec_lo, exec_lo, s19
	v_cmp_gt_u64_e64 s5, s[10:11], 56
	s_lshl_b64 s[16:17], s[16:17], 12
	v_and_b32_e32 v7, 0xffffff1f, v7
	v_add_co_u32 v25, vcc_lo, v25, s16
	v_add_co_ci_u32_e64 v26, null, s17, v26, vcc_lo
	s_and_b32 s5, s5, exec_lo
	s_cselect_b32 s5, 0, 2
	s_lshl_b32 s19, s12, 2
	v_or_b32_e32 v7, s5, v7
	v_readfirstlane_b32 s16, v25
	v_readfirstlane_b32 s17, v26
	s_add_i32 s19, s19, 28
	v_and_or_b32 v7, 0x1e0, s19, v7
	global_store_dwordx4 v28, v[11:14], s[16:17] offset:16
	global_store_dwordx4 v28, v[15:18], s[16:17] offset:32
	global_store_dwordx4 v28, v[7:10], s[16:17]
	global_store_dwordx4 v28, v[19:22], s[16:17] offset:48
	s_and_saveexec_b32 s5, s4
	s_cbranch_execz .LBB1_129
; %bb.122:                              ;   in Loop: Header=BB1_64 Depth=4
	s_clause 0x1
	global_load_dwordx2 v[15:16], v44, s[6:7] offset:32 glc dlc
	global_load_dwordx2 v[7:8], v44, s[6:7] offset:40
	v_mov_b32_e32 v13, s14
	v_mov_b32_e32 v14, s15
	s_waitcnt vmcnt(0)
	v_readfirstlane_b32 s16, v7
	v_readfirstlane_b32 s17, v8
	s_and_b64 s[16:17], s[16:17], s[14:15]
	s_mul_i32 s17, s17, 24
	s_mul_hi_u32 s19, s16, 24
	s_mul_i32 s16, s16, 24
	s_add_i32 s19, s19, s17
	v_add_co_u32 v11, vcc_lo, v23, s16
	v_add_co_ci_u32_e64 v12, null, s19, v24, vcc_lo
	s_mov_b32 s16, exec_lo
	global_store_dwordx2 v[11:12], v[15:16], off
	s_waitcnt_vscnt null, 0x0
	global_atomic_cmpswap_x2 v[9:10], v44, v[13:16], s[6:7] offset:32 glc
	s_waitcnt vmcnt(0)
	v_cmpx_ne_u64_e64 v[9:10], v[15:16]
	s_cbranch_execz .LBB1_125
; %bb.123:                              ;   in Loop: Header=BB1_64 Depth=4
	s_mov_b32 s17, 0
.LBB1_124:                              ;   Parent Loop BB1_13 Depth=1
                                        ;     Parent Loop BB1_20 Depth=2
                                        ;       Parent Loop BB1_34 Depth=3
                                        ;         Parent Loop BB1_64 Depth=4
                                        ; =>        This Inner Loop Header: Depth=5
	v_mov_b32_e32 v7, s14
	v_mov_b32_e32 v8, s15
	s_sleep 1
	global_store_dwordx2 v[11:12], v[9:10], off
	s_waitcnt_vscnt null, 0x0
	global_atomic_cmpswap_x2 v[7:8], v44, v[7:10], s[6:7] offset:32 glc
	s_waitcnt vmcnt(0)
	v_cmp_eq_u64_e32 vcc_lo, v[7:8], v[9:10]
	v_mov_b32_e32 v10, v8
	v_mov_b32_e32 v9, v7
	s_or_b32 s17, vcc_lo, s17
	s_andn2_b32 exec_lo, exec_lo, s17
	s_cbranch_execnz .LBB1_124
.LBB1_125:                              ;   in Loop: Header=BB1_64 Depth=4
	s_or_b32 exec_lo, exec_lo, s16
	global_load_dwordx2 v[7:8], v44, s[6:7] offset:16
	s_mov_b32 s17, exec_lo
	s_mov_b32 s16, exec_lo
	v_mbcnt_lo_u32_b32 v9, s17, 0
	v_cmpx_eq_u32_e32 0, v9
	s_cbranch_execz .LBB1_127
; %bb.126:                              ;   in Loop: Header=BB1_64 Depth=4
	s_bcnt1_i32_b32 s17, s17
	v_mov_b32_e32 v43, s17
	s_waitcnt vmcnt(0)
	global_atomic_add_x2 v[7:8], v[43:44], off offset:8
.LBB1_127:                              ;   in Loop: Header=BB1_64 Depth=4
	s_or_b32 exec_lo, exec_lo, s16
	s_waitcnt vmcnt(0)
	global_load_dwordx2 v[9:10], v[7:8], off offset:16
	s_waitcnt vmcnt(0)
	v_cmp_eq_u64_e32 vcc_lo, 0, v[9:10]
	s_cbranch_vccnz .LBB1_129
; %bb.128:                              ;   in Loop: Header=BB1_64 Depth=4
	global_load_dword v43, v[7:8], off offset:24
	s_waitcnt vmcnt(0)
	v_readfirstlane_b32 s16, v43
	s_waitcnt_vscnt null, 0x0
	global_store_dwordx2 v[9:10], v[43:44], off
	s_and_b32 m0, s16, 0x7fffff
	s_sendmsg sendmsg(MSG_INTERRUPT)
.LBB1_129:                              ;   in Loop: Header=BB1_64 Depth=4
	s_or_b32 exec_lo, exec_lo, s5
	v_add_co_u32 v7, vcc_lo, v25, v28
	v_add_co_ci_u32_e64 v8, null, 0, v26, vcc_lo
	s_branch .LBB1_133
	.p2align	6
.LBB1_130:                              ;   in Loop: Header=BB1_133 Depth=5
	s_or_b32 exec_lo, exec_lo, s5
	v_readfirstlane_b32 s5, v9
	s_cmp_eq_u32 s5, 0
	s_cbranch_scc1 .LBB1_132
; %bb.131:                              ;   in Loop: Header=BB1_133 Depth=5
	s_sleep 1
	s_cbranch_execnz .LBB1_133
	s_branch .LBB1_135
	.p2align	6
.LBB1_132:                              ;   in Loop: Header=BB1_64 Depth=4
	s_branch .LBB1_135
.LBB1_133:                              ;   Parent Loop BB1_13 Depth=1
                                        ;     Parent Loop BB1_20 Depth=2
                                        ;       Parent Loop BB1_34 Depth=3
                                        ;         Parent Loop BB1_64 Depth=4
                                        ; =>        This Inner Loop Header: Depth=5
	v_mov_b32_e32 v9, 1
	s_and_saveexec_b32 s5, s4
	s_cbranch_execz .LBB1_130
; %bb.134:                              ;   in Loop: Header=BB1_133 Depth=5
	global_load_dword v9, v[2:3], off offset:20 glc dlc
	s_waitcnt vmcnt(0)
	buffer_gl1_inv
	buffer_gl0_inv
	v_and_b32_e32 v9, 1, v9
	s_branch .LBB1_130
.LBB1_135:                              ;   in Loop: Header=BB1_64 Depth=4
	global_load_dwordx4 v[7:10], v[7:8], off
	s_and_saveexec_b32 s16, s4
	s_cbranch_execz .LBB1_63
; %bb.136:                              ;   in Loop: Header=BB1_64 Depth=4
	s_clause 0x2
	global_load_dwordx2 v[2:3], v44, s[6:7] offset:40
	global_load_dwordx2 v[13:14], v44, s[6:7] offset:24 glc dlc
	global_load_dwordx2 v[9:10], v44, s[6:7]
	s_waitcnt vmcnt(2)
	v_readfirstlane_b32 s20, v2
	v_readfirstlane_b32 s21, v3
	s_add_u32 s17, s20, 1
	s_addc_u32 s19, s21, 0
	s_add_u32 s4, s17, s14
	s_addc_u32 s5, s19, s15
	s_cmp_eq_u64 s[4:5], 0
	s_cselect_b32 s5, s19, s5
	s_cselect_b32 s4, s17, s4
	v_mov_b32_e32 v12, s5
	s_and_b64 s[14:15], s[4:5], s[20:21]
	v_mov_b32_e32 v11, s4
	s_mul_i32 s15, s15, 24
	s_mul_hi_u32 s17, s14, 24
	s_mul_i32 s14, s14, 24
	s_add_i32 s17, s17, s15
	s_waitcnt vmcnt(0)
	v_add_co_u32 v2, vcc_lo, v9, s14
	v_add_co_ci_u32_e64 v3, null, s17, v10, vcc_lo
	global_store_dwordx2 v[2:3], v[13:14], off
	s_waitcnt_vscnt null, 0x0
	global_atomic_cmpswap_x2 v[11:12], v44, v[11:14], s[6:7] offset:24 glc
	s_waitcnt vmcnt(0)
	v_cmp_ne_u64_e32 vcc_lo, v[11:12], v[13:14]
	s_and_b32 exec_lo, exec_lo, vcc_lo
	s_cbranch_execz .LBB1_63
; %bb.137:                              ;   in Loop: Header=BB1_64 Depth=4
	s_mov_b32 s14, 0
.LBB1_138:                              ;   Parent Loop BB1_13 Depth=1
                                        ;     Parent Loop BB1_20 Depth=2
                                        ;       Parent Loop BB1_34 Depth=3
                                        ;         Parent Loop BB1_64 Depth=4
                                        ; =>        This Inner Loop Header: Depth=5
	v_mov_b32_e32 v9, s4
	v_mov_b32_e32 v10, s5
	s_sleep 1
	global_store_dwordx2 v[2:3], v[11:12], off
	s_waitcnt_vscnt null, 0x0
	global_atomic_cmpswap_x2 v[9:10], v44, v[9:12], s[6:7] offset:24 glc
	s_waitcnt vmcnt(0)
	v_cmp_eq_u64_e32 vcc_lo, v[9:10], v[11:12]
	v_mov_b32_e32 v12, v10
	v_mov_b32_e32 v11, v9
	s_or_b32 s14, vcc_lo, s14
	s_andn2_b32 exec_lo, exec_lo, s14
	s_cbranch_execnz .LBB1_138
	s_branch .LBB1_63
.LBB1_139:                              ;   in Loop: Header=BB1_34 Depth=3
	s_branch .LBB1_167
.LBB1_140:                              ;   in Loop: Header=BB1_34 Depth=3
	s_cbranch_execz .LBB1_167
; %bb.141:                              ;   in Loop: Header=BB1_34 Depth=3
	v_readfirstlane_b32 s4, v83
	v_mov_b32_e32 v2, 0
	v_mov_b32_e32 v3, 0
	v_cmp_eq_u32_e64 s4, s4, v83
	s_and_saveexec_b32 s5, s4
	s_cbranch_execz .LBB1_147
; %bb.142:                              ;   in Loop: Header=BB1_34 Depth=3
	global_load_dwordx2 v[9:10], v44, s[6:7] offset:24 glc dlc
	s_waitcnt vmcnt(0)
	buffer_gl1_inv
	buffer_gl0_inv
	s_clause 0x1
	global_load_dwordx2 v[2:3], v44, s[6:7] offset:40
	global_load_dwordx2 v[7:8], v44, s[6:7]
	s_mov_b32 s8, exec_lo
	s_waitcnt vmcnt(1)
	v_and_b32_e32 v3, v3, v10
	v_and_b32_e32 v2, v2, v9
	v_mul_lo_u32 v3, v3, 24
	v_mul_hi_u32 v11, v2, 24
	v_mul_lo_u32 v2, v2, 24
	v_add_nc_u32_e32 v3, v11, v3
	s_waitcnt vmcnt(0)
	v_add_co_u32 v2, vcc_lo, v7, v2
	v_add_co_ci_u32_e64 v3, null, v8, v3, vcc_lo
	global_load_dwordx2 v[7:8], v[2:3], off glc dlc
	s_waitcnt vmcnt(0)
	global_atomic_cmpswap_x2 v[2:3], v44, v[7:10], s[6:7] offset:24 glc
	s_waitcnt vmcnt(0)
	buffer_gl1_inv
	buffer_gl0_inv
	v_cmpx_ne_u64_e64 v[2:3], v[9:10]
	s_cbranch_execz .LBB1_146
; %bb.143:                              ;   in Loop: Header=BB1_34 Depth=3
	s_mov_b32 s9, 0
	.p2align	6
.LBB1_144:                              ;   Parent Loop BB1_13 Depth=1
                                        ;     Parent Loop BB1_20 Depth=2
                                        ;       Parent Loop BB1_34 Depth=3
                                        ; =>      This Inner Loop Header: Depth=4
	s_sleep 1
	s_clause 0x1
	global_load_dwordx2 v[7:8], v44, s[6:7] offset:40
	global_load_dwordx2 v[11:12], v44, s[6:7]
	v_mov_b32_e32 v10, v3
	v_mov_b32_e32 v9, v2
	s_waitcnt vmcnt(1)
	v_and_b32_e32 v2, v7, v9
	v_and_b32_e32 v7, v8, v10
	s_waitcnt vmcnt(0)
	v_mad_u64_u32 v[2:3], null, v2, 24, v[11:12]
	v_mad_u64_u32 v[7:8], null, v7, 24, v[3:4]
	v_mov_b32_e32 v3, v7
	global_load_dwordx2 v[7:8], v[2:3], off glc dlc
	s_waitcnt vmcnt(0)
	global_atomic_cmpswap_x2 v[2:3], v44, v[7:10], s[6:7] offset:24 glc
	s_waitcnt vmcnt(0)
	buffer_gl1_inv
	buffer_gl0_inv
	v_cmp_eq_u64_e32 vcc_lo, v[2:3], v[9:10]
	s_or_b32 s9, vcc_lo, s9
	s_andn2_b32 exec_lo, exec_lo, s9
	s_cbranch_execnz .LBB1_144
; %bb.145:                              ;   in Loop: Header=BB1_34 Depth=3
	s_or_b32 exec_lo, exec_lo, s9
.LBB1_146:                              ;   in Loop: Header=BB1_34 Depth=3
	s_or_b32 exec_lo, exec_lo, s8
.LBB1_147:                              ;   in Loop: Header=BB1_34 Depth=3
	s_or_b32 exec_lo, exec_lo, s5
	s_clause 0x1
	global_load_dwordx2 v[7:8], v44, s[6:7] offset:40
	global_load_dwordx4 v[9:12], v44, s[6:7]
	v_readfirstlane_b32 s9, v3
	v_readfirstlane_b32 s8, v2
	s_mov_b32 s5, exec_lo
	s_waitcnt vmcnt(1)
	v_readfirstlane_b32 s10, v7
	v_readfirstlane_b32 s11, v8
	s_and_b64 s[10:11], s[10:11], s[8:9]
	s_mul_i32 s12, s11, 24
	s_mul_hi_u32 s13, s10, 24
	s_mul_i32 s14, s10, 24
	s_add_i32 s13, s13, s12
	s_waitcnt vmcnt(0)
	v_add_co_u32 v2, vcc_lo, v9, s14
	v_add_co_ci_u32_e64 v3, null, s13, v10, vcc_lo
	s_and_saveexec_b32 s12, s4
	s_cbranch_execz .LBB1_149
; %bb.148:                              ;   in Loop: Header=BB1_34 Depth=3
	v_mov_b32_e32 v43, s5
	global_store_dwordx4 v[2:3], v[43:46], off offset:8
.LBB1_149:                              ;   in Loop: Header=BB1_34 Depth=3
	s_or_b32 exec_lo, exec_lo, s12
	s_lshl_b64 s[10:11], s[10:11], 12
	s_mov_b32 s41, s40
	v_add_co_u32 v11, vcc_lo, v11, s10
	v_add_co_ci_u32_e64 v12, null, s11, v12, vcc_lo
	s_mov_b32 s42, s40
	s_mov_b32 s43, s40
	v_and_or_b32 v5, 0xffffff1d, v5, 34
	v_mov_b32_e32 v7, v44
	v_mov_b32_e32 v8, v44
	v_readfirstlane_b32 s10, v11
	v_readfirstlane_b32 s11, v12
	v_mov_b32_e32 v11, s40
	v_mov_b32_e32 v12, s41
	;; [unrolled: 1-line block ×4, first 2 shown]
	global_store_dwordx4 v28, v[5:8], s[10:11]
	global_store_dwordx4 v28, v[11:14], s[10:11] offset:16
	global_store_dwordx4 v28, v[11:14], s[10:11] offset:32
	;; [unrolled: 1-line block ×3, first 2 shown]
	s_and_saveexec_b32 s5, s4
	s_cbranch_execz .LBB1_157
; %bb.150:                              ;   in Loop: Header=BB1_34 Depth=3
	s_clause 0x1
	global_load_dwordx2 v[13:14], v44, s[6:7] offset:32 glc dlc
	global_load_dwordx2 v[5:6], v44, s[6:7] offset:40
	v_mov_b32_e32 v11, s8
	v_mov_b32_e32 v12, s9
	s_waitcnt vmcnt(0)
	v_readfirstlane_b32 s10, v5
	v_readfirstlane_b32 s11, v6
	s_and_b64 s[10:11], s[10:11], s[8:9]
	s_mul_i32 s11, s11, 24
	s_mul_hi_u32 s12, s10, 24
	s_mul_i32 s10, s10, 24
	s_add_i32 s12, s12, s11
	v_add_co_u32 v9, vcc_lo, v9, s10
	v_add_co_ci_u32_e64 v10, null, s12, v10, vcc_lo
	s_mov_b32 s10, exec_lo
	global_store_dwordx2 v[9:10], v[13:14], off
	s_waitcnt_vscnt null, 0x0
	global_atomic_cmpswap_x2 v[7:8], v44, v[11:14], s[6:7] offset:32 glc
	s_waitcnt vmcnt(0)
	v_cmpx_ne_u64_e64 v[7:8], v[13:14]
	s_cbranch_execz .LBB1_153
; %bb.151:                              ;   in Loop: Header=BB1_34 Depth=3
	s_mov_b32 s11, 0
.LBB1_152:                              ;   Parent Loop BB1_13 Depth=1
                                        ;     Parent Loop BB1_20 Depth=2
                                        ;       Parent Loop BB1_34 Depth=3
                                        ; =>      This Inner Loop Header: Depth=4
	v_mov_b32_e32 v5, s8
	v_mov_b32_e32 v6, s9
	s_sleep 1
	global_store_dwordx2 v[9:10], v[7:8], off
	s_waitcnt_vscnt null, 0x0
	global_atomic_cmpswap_x2 v[5:6], v44, v[5:8], s[6:7] offset:32 glc
	s_waitcnt vmcnt(0)
	v_cmp_eq_u64_e32 vcc_lo, v[5:6], v[7:8]
	v_mov_b32_e32 v8, v6
	v_mov_b32_e32 v7, v5
	s_or_b32 s11, vcc_lo, s11
	s_andn2_b32 exec_lo, exec_lo, s11
	s_cbranch_execnz .LBB1_152
.LBB1_153:                              ;   in Loop: Header=BB1_34 Depth=3
	s_or_b32 exec_lo, exec_lo, s10
	global_load_dwordx2 v[5:6], v44, s[6:7] offset:16
	s_mov_b32 s11, exec_lo
	s_mov_b32 s10, exec_lo
	v_mbcnt_lo_u32_b32 v7, s11, 0
	v_cmpx_eq_u32_e32 0, v7
	s_cbranch_execz .LBB1_155
; %bb.154:                              ;   in Loop: Header=BB1_34 Depth=3
	s_bcnt1_i32_b32 s11, s11
	v_mov_b32_e32 v43, s11
	s_waitcnt vmcnt(0)
	global_atomic_add_x2 v[5:6], v[43:44], off offset:8
.LBB1_155:                              ;   in Loop: Header=BB1_34 Depth=3
	s_or_b32 exec_lo, exec_lo, s10
	s_waitcnt vmcnt(0)
	global_load_dwordx2 v[7:8], v[5:6], off offset:16
	s_waitcnt vmcnt(0)
	v_cmp_eq_u64_e32 vcc_lo, 0, v[7:8]
	s_cbranch_vccnz .LBB1_157
; %bb.156:                              ;   in Loop: Header=BB1_34 Depth=3
	global_load_dword v43, v[5:6], off offset:24
	s_waitcnt vmcnt(0)
	v_readfirstlane_b32 s10, v43
	s_waitcnt_vscnt null, 0x0
	global_store_dwordx2 v[7:8], v[43:44], off
	s_and_b32 m0, s10, 0x7fffff
	s_sendmsg sendmsg(MSG_INTERRUPT)
.LBB1_157:                              ;   in Loop: Header=BB1_34 Depth=3
	s_or_b32 exec_lo, exec_lo, s5
	s_branch .LBB1_161
	.p2align	6
.LBB1_158:                              ;   in Loop: Header=BB1_161 Depth=4
	s_or_b32 exec_lo, exec_lo, s5
	v_readfirstlane_b32 s5, v5
	s_cmp_eq_u32 s5, 0
	s_cbranch_scc1 .LBB1_160
; %bb.159:                              ;   in Loop: Header=BB1_161 Depth=4
	s_sleep 1
	s_cbranch_execnz .LBB1_161
	s_branch .LBB1_163
	.p2align	6
.LBB1_160:                              ;   in Loop: Header=BB1_34 Depth=3
	s_branch .LBB1_163
.LBB1_161:                              ;   Parent Loop BB1_13 Depth=1
                                        ;     Parent Loop BB1_20 Depth=2
                                        ;       Parent Loop BB1_34 Depth=3
                                        ; =>      This Inner Loop Header: Depth=4
	v_mov_b32_e32 v5, 1
	s_and_saveexec_b32 s5, s4
	s_cbranch_execz .LBB1_158
; %bb.162:                              ;   in Loop: Header=BB1_161 Depth=4
	global_load_dword v5, v[2:3], off offset:20 glc dlc
	s_waitcnt vmcnt(0)
	buffer_gl1_inv
	buffer_gl0_inv
	v_and_b32_e32 v5, 1, v5
	s_branch .LBB1_158
.LBB1_163:                              ;   in Loop: Header=BB1_34 Depth=3
	s_and_b32 exec_lo, exec_lo, s4
	s_cbranch_execz .LBB1_167
; %bb.164:                              ;   in Loop: Header=BB1_34 Depth=3
	s_clause 0x2
	global_load_dwordx2 v[2:3], v44, s[6:7] offset:40
	global_load_dwordx2 v[9:10], v44, s[6:7] offset:24 glc dlc
	global_load_dwordx2 v[5:6], v44, s[6:7]
	s_waitcnt vmcnt(2)
	v_readfirstlane_b32 s10, v2
	v_readfirstlane_b32 s11, v3
	s_add_u32 s12, s10, 1
	s_addc_u32 s13, s11, 0
	s_add_u32 s4, s12, s8
	s_addc_u32 s5, s13, s9
	s_cmp_eq_u64 s[4:5], 0
	s_cselect_b32 s5, s13, s5
	s_cselect_b32 s4, s12, s4
	v_mov_b32_e32 v8, s5
	s_and_b64 s[8:9], s[4:5], s[10:11]
	v_mov_b32_e32 v7, s4
	s_mul_i32 s9, s9, 24
	s_mul_hi_u32 s10, s8, 24
	s_mul_i32 s8, s8, 24
	s_add_i32 s10, s10, s9
	s_waitcnt vmcnt(0)
	v_add_co_u32 v2, vcc_lo, v5, s8
	v_add_co_ci_u32_e64 v3, null, s10, v6, vcc_lo
	global_store_dwordx2 v[2:3], v[9:10], off
	s_waitcnt_vscnt null, 0x0
	global_atomic_cmpswap_x2 v[7:8], v44, v[7:10], s[6:7] offset:24 glc
	s_waitcnt vmcnt(0)
	v_cmp_ne_u64_e32 vcc_lo, v[7:8], v[9:10]
	s_and_b32 exec_lo, exec_lo, vcc_lo
	s_cbranch_execz .LBB1_167
; %bb.165:                              ;   in Loop: Header=BB1_34 Depth=3
	s_mov_b32 s8, 0
.LBB1_166:                              ;   Parent Loop BB1_13 Depth=1
                                        ;     Parent Loop BB1_20 Depth=2
                                        ;       Parent Loop BB1_34 Depth=3
                                        ; =>      This Inner Loop Header: Depth=4
	v_mov_b32_e32 v5, s4
	v_mov_b32_e32 v6, s5
	s_sleep 1
	global_store_dwordx2 v[2:3], v[7:8], off
	s_waitcnt_vscnt null, 0x0
	global_atomic_cmpswap_x2 v[5:6], v44, v[5:8], s[6:7] offset:24 glc
	s_waitcnt vmcnt(0)
	v_cmp_eq_u64_e32 vcc_lo, v[5:6], v[7:8]
	v_mov_b32_e32 v8, v6
	v_mov_b32_e32 v7, v5
	s_or_b32 s8, vcc_lo, s8
	s_andn2_b32 exec_lo, exec_lo, s8
	s_cbranch_execnz .LBB1_166
.LBB1_167:                              ;   in Loop: Header=BB1_34 Depth=3
	s_or_b32 exec_lo, exec_lo, s18
	v_add_co_u32 v2, vcc_lo, v91, v27
	v_add_co_ci_u32_e64 v3, null, 0, v92, vcc_lo
	s_mov_b32 s5, exec_lo
	global_load_ubyte v5, v[2:3], off
	s_waitcnt vmcnt(0)
	v_cmpx_ne_u16_e32 0x4e, v5
	s_cbranch_execz .LBB1_33
; %bb.168:                              ;   in Loop: Header=BB1_34 Depth=3
	v_add_co_u32 v2, vcc_lo, v93, v27
	v_add_co_ci_u32_e64 v3, null, 0, v94, vcc_lo
	s_mov_b32 s6, exec_lo
	global_load_sbyte v2, v[2:3], off
	s_waitcnt vmcnt(0)
	v_subrev_nc_u32_e32 v6, s50, v2
	v_cmpx_lt_i32_e32 9, v6
	s_cbranch_execz .LBB1_173
; %bb.169:                              ;   in Loop: Header=BB1_34 Depth=3
	s_mov_b32 s7, 0
	s_mov_b32 s4, exec_lo
                                        ; implicit-def: $vgpr2_vgpr3
	v_cmpx_lt_i16_e32 0x46, v5
	s_xor_b32 s4, exec_lo, s4
	s_cbranch_execnz .LBB1_177
; %bb.170:                              ;   in Loop: Header=BB1_34 Depth=3
	s_andn2_saveexec_b32 s8, s4
	s_cbranch_execnz .LBB1_186
.LBB1_171:                              ;   in Loop: Header=BB1_34 Depth=3
	s_or_b32 exec_lo, exec_lo, s8
	s_and_b32 exec_lo, exec_lo, s7
	s_cbranch_execz .LBB1_173
.LBB1_172:                              ;   in Loop: Header=BB1_34 Depth=3
	flat_atomic_add v[2:3], v46
.LBB1_173:                              ;   in Loop: Header=BB1_34 Depth=3
	s_or_b32 exec_lo, exec_lo, s6
	v_cmp_lt_i32_e32 vcc_lo, 19, v6
	s_and_b32 exec_lo, exec_lo, vcc_lo
	s_cbranch_execz .LBB1_33
; %bb.174:                              ;   in Loop: Header=BB1_34 Depth=3
	s_mov_b32 s6, 0
	s_mov_b32 s4, exec_lo
                                        ; implicit-def: $vgpr2_vgpr3
	v_cmpx_lt_i16_e32 0x46, v5
	s_xor_b32 s4, exec_lo, s4
	s_cbranch_execnz .LBB1_193
; %bb.175:                              ;   in Loop: Header=BB1_34 Depth=3
	s_andn2_saveexec_b32 s7, s4
	s_cbranch_execnz .LBB1_202
.LBB1_176:                              ;   in Loop: Header=BB1_34 Depth=3
	s_or_b32 exec_lo, exec_lo, s7
	s_and_b32 exec_lo, exec_lo, s6
	s_cbranch_execz .LBB1_33
	s_branch .LBB1_209
.LBB1_177:                              ;   in Loop: Header=BB1_34 Depth=3
	s_mov_b32 s8, exec_lo
                                        ; implicit-def: $vgpr2_vgpr3
	v_cmpx_lt_i16_e32 0x53, v5
	s_xor_b32 s8, exec_lo, s8
	s_cbranch_execz .LBB1_181
; %bb.178:                              ;   in Loop: Header=BB1_34 Depth=3
	s_mov_b32 s9, exec_lo
                                        ; implicit-def: $vgpr2_vgpr3
	v_cmpx_eq_u16_e32 0x54, v5
; %bb.179:                              ;   in Loop: Header=BB1_34 Depth=3
	v_add_co_u32 v2, vcc_lo, v0, 44
	s_mov_b32 s7, exec_lo
	v_add_co_ci_u32_e64 v3, null, 0, v1, vcc_lo
; %bb.180:                              ;   in Loop: Header=BB1_34 Depth=3
	s_or_b32 exec_lo, exec_lo, s9
	s_and_b32 s7, s7, exec_lo
.LBB1_181:                              ;   in Loop: Header=BB1_34 Depth=3
	s_andn2_saveexec_b32 s8, s8
	s_cbranch_execz .LBB1_185
; %bb.182:                              ;   in Loop: Header=BB1_34 Depth=3
	s_mov_b32 s9, s7
	s_mov_b32 s10, exec_lo
                                        ; implicit-def: $vgpr2_vgpr3
	v_cmpx_eq_u16_e32 0x47, v5
; %bb.183:                              ;   in Loop: Header=BB1_34 Depth=3
	v_add_co_u32 v2, vcc_lo, v0, 40
	v_add_co_ci_u32_e64 v3, null, 0, v1, vcc_lo
	s_or_b32 s9, s7, exec_lo
; %bb.184:                              ;   in Loop: Header=BB1_34 Depth=3
	s_or_b32 exec_lo, exec_lo, s10
	s_andn2_b32 s7, s7, exec_lo
	s_and_b32 s9, s9, exec_lo
	s_or_b32 s7, s7, s9
.LBB1_185:                              ;   in Loop: Header=BB1_34 Depth=3
	s_or_b32 exec_lo, exec_lo, s8
	s_and_b32 s7, s7, exec_lo
	s_andn2_saveexec_b32 s8, s4
	s_cbranch_execz .LBB1_171
.LBB1_186:                              ;   in Loop: Header=BB1_34 Depth=3
	s_mov_b32 s9, s7
	s_mov_b32 s4, exec_lo
                                        ; implicit-def: $vgpr2_vgpr3
	v_cmpx_lt_i16_e32 0x42, v5
	s_xor_b32 s4, exec_lo, s4
	s_cbranch_execz .LBB1_190
; %bb.187:                              ;   in Loop: Header=BB1_34 Depth=3
	s_mov_b32 s9, s7
	s_mov_b32 s10, exec_lo
                                        ; implicit-def: $vgpr2_vgpr3
	v_cmpx_eq_u16_e32 0x43, v5
; %bb.188:                              ;   in Loop: Header=BB1_34 Depth=3
	v_add_co_u32 v2, vcc_lo, v0, 36
	v_add_co_ci_u32_e64 v3, null, 0, v1, vcc_lo
	s_or_b32 s9, s7, exec_lo
; %bb.189:                              ;   in Loop: Header=BB1_34 Depth=3
	s_or_b32 exec_lo, exec_lo, s10
	s_andn2_b32 s10, s7, exec_lo
	s_and_b32 s9, s9, exec_lo
	s_or_b32 s9, s10, s9
.LBB1_190:                              ;   in Loop: Header=BB1_34 Depth=3
	s_andn2_saveexec_b32 s10, s4
; %bb.191:                              ;   in Loop: Header=BB1_34 Depth=3
	v_cmp_eq_u16_e32 vcc_lo, 0x41, v5
	v_add_co_u32 v2, s4, v0, 32
	v_add_co_ci_u32_e64 v3, null, 0, v1, s4
	s_andn2_b32 s4, s9, exec_lo
	s_and_b32 s9, vcc_lo, exec_lo
	s_or_b32 s9, s4, s9
; %bb.192:                              ;   in Loop: Header=BB1_34 Depth=3
	s_or_b32 exec_lo, exec_lo, s10
	s_andn2_b32 s4, s7, exec_lo
	s_and_b32 s7, s9, exec_lo
	s_or_b32 s7, s4, s7
	s_or_b32 exec_lo, exec_lo, s8
	s_and_b32 exec_lo, exec_lo, s7
	s_cbranch_execnz .LBB1_172
	s_branch .LBB1_173
.LBB1_193:                              ;   in Loop: Header=BB1_34 Depth=3
	s_mov_b32 s7, exec_lo
                                        ; implicit-def: $vgpr2_vgpr3
	v_cmpx_lt_i16_e32 0x53, v5
	s_xor_b32 s7, exec_lo, s7
	s_cbranch_execz .LBB1_197
; %bb.194:                              ;   in Loop: Header=BB1_34 Depth=3
	s_mov_b32 s8, exec_lo
                                        ; implicit-def: $vgpr2_vgpr3
	v_cmpx_eq_u16_e32 0x54, v5
; %bb.195:                              ;   in Loop: Header=BB1_34 Depth=3
	v_add_co_u32 v2, vcc_lo, v0, 28
	s_mov_b32 s6, exec_lo
	v_add_co_ci_u32_e64 v3, null, 0, v1, vcc_lo
; %bb.196:                              ;   in Loop: Header=BB1_34 Depth=3
	s_or_b32 exec_lo, exec_lo, s8
	s_and_b32 s6, s6, exec_lo
                                        ; implicit-def: $vgpr5
                                        ; implicit-def: $vgpr0
                                        ; implicit-def: $vgpr1
.LBB1_197:                              ;   in Loop: Header=BB1_34 Depth=3
	s_andn2_saveexec_b32 s7, s7
	s_cbranch_execz .LBB1_201
; %bb.198:                              ;   in Loop: Header=BB1_34 Depth=3
	s_mov_b32 s8, s6
	s_mov_b32 s9, exec_lo
                                        ; implicit-def: $vgpr2_vgpr3
	v_cmpx_eq_u16_e32 0x47, v5
; %bb.199:                              ;   in Loop: Header=BB1_34 Depth=3
	v_add_co_u32 v2, vcc_lo, v0, 24
	v_add_co_ci_u32_e64 v3, null, 0, v1, vcc_lo
	s_or_b32 s8, s6, exec_lo
; %bb.200:                              ;   in Loop: Header=BB1_34 Depth=3
	s_or_b32 exec_lo, exec_lo, s9
	s_andn2_b32 s6, s6, exec_lo
	s_and_b32 s8, s8, exec_lo
	s_or_b32 s6, s6, s8
.LBB1_201:                              ;   in Loop: Header=BB1_34 Depth=3
	s_or_b32 exec_lo, exec_lo, s7
	s_and_b32 s6, s6, exec_lo
                                        ; implicit-def: $vgpr0
                                        ; implicit-def: $vgpr1
                                        ; implicit-def: $vgpr5
	s_andn2_saveexec_b32 s7, s4
	s_cbranch_execz .LBB1_176
.LBB1_202:                              ;   in Loop: Header=BB1_34 Depth=3
	s_mov_b32 s8, s6
	s_mov_b32 s4, exec_lo
                                        ; implicit-def: $vgpr2_vgpr3
	v_cmpx_lt_i16_e32 0x42, v5
	s_xor_b32 s4, exec_lo, s4
	s_cbranch_execz .LBB1_206
; %bb.203:                              ;   in Loop: Header=BB1_34 Depth=3
	s_mov_b32 s8, s6
	s_mov_b32 s9, exec_lo
                                        ; implicit-def: $vgpr2_vgpr3
	v_cmpx_eq_u16_e32 0x43, v5
; %bb.204:                              ;   in Loop: Header=BB1_34 Depth=3
	v_add_co_u32 v2, vcc_lo, v0, 20
	v_add_co_ci_u32_e64 v3, null, 0, v1, vcc_lo
	s_or_b32 s8, s6, exec_lo
; %bb.205:                              ;   in Loop: Header=BB1_34 Depth=3
	s_or_b32 exec_lo, exec_lo, s9
	s_andn2_b32 s9, s6, exec_lo
	s_and_b32 s8, s8, exec_lo
                                        ; implicit-def: $vgpr0
                                        ; implicit-def: $vgpr1
                                        ; implicit-def: $vgpr5
	s_or_b32 s8, s9, s8
.LBB1_206:                              ;   in Loop: Header=BB1_34 Depth=3
	s_andn2_saveexec_b32 s9, s4
; %bb.207:                              ;   in Loop: Header=BB1_34 Depth=3
	v_cmp_eq_u16_e32 vcc_lo, 0x41, v5
	v_add_co_u32 v2, s4, v0, 16
	v_add_co_ci_u32_e64 v3, null, 0, v1, s4
	s_andn2_b32 s4, s8, exec_lo
	s_and_b32 s8, vcc_lo, exec_lo
	s_or_b32 s8, s4, s8
; %bb.208:                              ;   in Loop: Header=BB1_34 Depth=3
	s_or_b32 exec_lo, exec_lo, s9
	s_andn2_b32 s4, s6, exec_lo
	s_and_b32 s6, s8, exec_lo
	s_or_b32 s6, s4, s6
	s_or_b32 exec_lo, exec_lo, s7
	s_and_b32 exec_lo, exec_lo, s6
	s_cbranch_execz .LBB1_33
.LBB1_209:                              ;   in Loop: Header=BB1_34 Depth=3
	flat_atomic_add v[2:3], v46
	s_branch .LBB1_33
.LBB1_210:                              ;   in Loop: Header=BB1_13 Depth=1
	s_or_b32 exec_lo, exec_lo, s63
; %bb.211:                              ;   in Loop: Header=BB1_13 Depth=1
	s_and_saveexec_b32 s18, s36
	s_cbranch_execz .LBB1_558
; %bb.212:                              ;   in Loop: Header=BB1_13 Depth=1
	v_mov_b32_e32 v27, v67
	s_mov_b32 s19, 0
	s_branch .LBB1_214
.LBB1_213:                              ;   in Loop: Header=BB1_214 Depth=2
	s_or_b32 exec_lo, exec_lo, s20
	v_add_nc_u32_e32 v27, 32, v27
	v_cmp_ge_u32_e32 vcc_lo, v27, v42
	s_or_b32 s19, vcc_lo, s19
	s_andn2_b32 exec_lo, exec_lo, s19
	s_cbranch_execz .LBB1_558
.LBB1_214:                              ;   Parent Loop BB1_13 Depth=1
                                        ; =>  This Loop Header: Depth=2
                                        ;       Child Loop BB1_323 Depth 3
                                        ;       Child Loop BB1_331 Depth 3
	;; [unrolled: 1-line block ×9, first 2 shown]
                                        ;         Child Loop BB1_424 Depth 4
                                        ;         Child Loop BB1_431 Depth 4
	;; [unrolled: 1-line block ×11, first 2 shown]
	v_mad_u64_u32 v[25:26], null, v27, 56, v[40:41]
	s_mov_b32 s20, exec_lo
	global_load_dword v0, v[25:26], off offset:8
	s_waitcnt vmcnt(0)
	v_cmpx_ne_u32_e32 -1, v0
	s_cbranch_execz .LBB1_213
; %bb.215:                              ;   in Loop: Header=BB1_214 Depth=2
	s_clause 0x1
	global_load_dwordx4 v[0:3], v[25:26], off offset:32
	global_load_dwordx4 v[5:8], v[25:26], off offset:16
	v_mov_b32_e32 v9, 0x41
	v_mov_b32_e32 v10, 0x43
	;; [unrolled: 1-line block ×4, first 2 shown]
	s_mov_b32 s6, exec_lo
	buffer_store_byte v9, off, s[0:3], 0 offset:16
	buffer_store_byte v10, off, s[0:3], 0 offset:32
	buffer_store_byte v11, off, s[0:3], 0 offset:48
	s_waitcnt vmcnt(0)
	buffer_store_dword v5, off, s[0:3], 0 offset:20
	buffer_store_dword v0, off, s[0:3], 0 offset:24
	;; [unrolled: 1-line block ×5, first 2 shown]
	v_mov_b32_e32 v14, v3
	v_mov_b32_e32 v15, v2
	;; [unrolled: 1-line block ×4, first 2 shown]
	buffer_store_dword v2, off, s[0:3], 0 offset:56
	buffer_store_byte v12, off, s[0:3], 0 offset:64
	buffer_store_dword v8, off, s[0:3], 0 offset:68
	buffer_store_dword v3, off, s[0:3], 0 offset:72
	v_cmpx_lt_u32_e32 1, v0
	s_cbranch_execz .LBB1_229
; %bb.216:                              ;   in Loop: Header=BB1_214 Depth=2
	v_cvt_f64_u32_e32 v[11:12], v0
	v_mov_b32_e32 v13, 2
	s_mov_b32 s7, exec_lo
	v_cmpx_ngt_f64_e32 v[71:72], v[11:12]
	s_cbranch_execz .LBB1_228
; %bb.217:                              ;   in Loop: Header=BB1_214 Depth=2
	v_cvt_f64_u32_e32 v[9:10], v5
	v_cmp_ngt_f64_e32 vcc_lo, v[73:74], v[11:12]
	v_cmp_nle_f64_e64 s4, v[71:72], v[11:12]
	v_mov_b32_e32 v13, 3
	v_cmp_ngt_f64_e64 s5, v[71:72], v[9:10]
	s_or_b32 s4, vcc_lo, s4
	s_or_b32 s8, s4, s5
	s_and_saveexec_b32 s5, s8
	s_cbranch_execz .LBB1_227
; %bb.218:                              ;   in Loop: Header=BB1_214 Depth=2
	v_cmp_nle_f64_e32 vcc_lo, v[71:72], v[9:10]
	v_mov_b32_e32 v13, 4
	s_or_b32 s4, s4, vcc_lo
	s_and_saveexec_b32 s8, s4
	s_cbranch_execz .LBB1_226
; %bb.219:                              ;   in Loop: Header=BB1_214 Depth=2
	v_cmp_nle_f64_e64 s10, v[73:74], v[11:12]
	v_cmp_ngt_f64_e64 s4, v[71:72], v[9:10]
	v_mov_b32_e32 v13, 5
	v_cmp_le_f64_e32 vcc_lo, v[73:74], v[11:12]
	s_or_b32 s4, s10, s4
	s_and_saveexec_b32 s9, s4
	s_cbranch_execz .LBB1_225
; %bb.220:                              ;   in Loop: Header=BB1_214 Depth=2
	s_and_saveexec_b32 s11, vcc_lo
	s_cbranch_execz .LBB1_222
; %bb.221:                              ;   in Loop: Header=BB1_214 Depth=2
	v_cmp_nlt_f64_e32 vcc_lo, v[71:72], v[9:10]
	v_cmp_ngt_f64_e64 s4, v[73:74], v[9:10]
	s_andn2_b32 s10, s10, exec_lo
	s_or_b32 s4, vcc_lo, s4
	s_and_b32 s4, s4, exec_lo
	s_or_b32 s10, s10, s4
.LBB1_222:                              ;   in Loop: Header=BB1_214 Depth=2
	s_or_b32 exec_lo, exec_lo, s11
	v_mov_b32_e32 v13, 6
	s_and_saveexec_b32 s4, s10
; %bb.223:                              ;   in Loop: Header=BB1_214 Depth=2
	v_mov_b32_e32 v13, 7
; %bb.224:                              ;   in Loop: Header=BB1_214 Depth=2
	s_or_b32 exec_lo, exec_lo, s4
.LBB1_225:                              ;   in Loop: Header=BB1_214 Depth=2
	s_or_b32 exec_lo, exec_lo, s9
.LBB1_226:                              ;   in Loop: Header=BB1_214 Depth=2
	s_or_b32 exec_lo, exec_lo, s8
.LBB1_227:                              ;   in Loop: Header=BB1_214 Depth=2
	s_or_b32 exec_lo, exec_lo, s5
.LBB1_228:                              ;   in Loop: Header=BB1_214 Depth=2
	s_or_b32 exec_lo, exec_lo, s7
.LBB1_229:                              ;   in Loop: Header=BB1_214 Depth=2
	s_or_b32 exec_lo, exec_lo, s6
	s_mov_b32 s6, exec_lo
	buffer_store_dword v13, off, s[0:3], 0 offset:28
	v_cmpx_lt_u32_e32 1, v1
	s_cbranch_execz .LBB1_243
; %bb.230:                              ;   in Loop: Header=BB1_214 Depth=2
	v_cvt_f64_u32_e32 v[11:12], v1
	v_mov_b32_e32 v16, 2
	s_mov_b32 s7, exec_lo
	v_cmpx_ngt_f64_e32 v[71:72], v[11:12]
	s_cbranch_execz .LBB1_242
; %bb.231:                              ;   in Loop: Header=BB1_214 Depth=2
	v_cvt_f64_u32_e32 v[9:10], v6
	v_cmp_ngt_f64_e32 vcc_lo, v[73:74], v[11:12]
	v_cmp_nle_f64_e64 s4, v[71:72], v[11:12]
	v_mov_b32_e32 v16, 3
	v_cmp_ngt_f64_e64 s5, v[71:72], v[9:10]
	s_or_b32 s4, vcc_lo, s4
	s_or_b32 s8, s4, s5
	s_and_saveexec_b32 s5, s8
	s_cbranch_execz .LBB1_241
; %bb.232:                              ;   in Loop: Header=BB1_214 Depth=2
	v_cmp_nle_f64_e32 vcc_lo, v[71:72], v[9:10]
	v_mov_b32_e32 v16, 4
	s_or_b32 s4, s4, vcc_lo
	s_and_saveexec_b32 s8, s4
	s_cbranch_execz .LBB1_240
; %bb.233:                              ;   in Loop: Header=BB1_214 Depth=2
	v_cmp_nle_f64_e64 s10, v[73:74], v[11:12]
	v_cmp_ngt_f64_e64 s4, v[71:72], v[9:10]
	v_mov_b32_e32 v16, 5
	v_cmp_le_f64_e32 vcc_lo, v[73:74], v[11:12]
	s_or_b32 s4, s10, s4
	s_and_saveexec_b32 s9, s4
	s_cbranch_execz .LBB1_239
; %bb.234:                              ;   in Loop: Header=BB1_214 Depth=2
	s_and_saveexec_b32 s11, vcc_lo
	s_cbranch_execz .LBB1_236
; %bb.235:                              ;   in Loop: Header=BB1_214 Depth=2
	v_cmp_nlt_f64_e32 vcc_lo, v[71:72], v[9:10]
	v_cmp_ngt_f64_e64 s4, v[73:74], v[9:10]
	s_andn2_b32 s10, s10, exec_lo
	s_or_b32 s4, vcc_lo, s4
	s_and_b32 s4, s4, exec_lo
	s_or_b32 s10, s10, s4
.LBB1_236:                              ;   in Loop: Header=BB1_214 Depth=2
	s_or_b32 exec_lo, exec_lo, s11
	v_mov_b32_e32 v16, 6
	s_and_saveexec_b32 s4, s10
; %bb.237:                              ;   in Loop: Header=BB1_214 Depth=2
	v_mov_b32_e32 v16, 7
; %bb.238:                              ;   in Loop: Header=BB1_214 Depth=2
	s_or_b32 exec_lo, exec_lo, s4
.LBB1_239:                              ;   in Loop: Header=BB1_214 Depth=2
	s_or_b32 exec_lo, exec_lo, s9
.LBB1_240:                              ;   in Loop: Header=BB1_214 Depth=2
	s_or_b32 exec_lo, exec_lo, s8
.LBB1_241:                              ;   in Loop: Header=BB1_214 Depth=2
	s_or_b32 exec_lo, exec_lo, s5
.LBB1_242:                              ;   in Loop: Header=BB1_214 Depth=2
	s_or_b32 exec_lo, exec_lo, s7
.LBB1_243:                              ;   in Loop: Header=BB1_214 Depth=2
	s_or_b32 exec_lo, exec_lo, s6
	s_mov_b32 s6, exec_lo
	;; [unrolled: 62-line block ×4, first 2 shown]
	buffer_store_dword v14, off, s[0:3], 0 offset:76
                                        ; implicit-def: $sgpr4
	v_cmpx_ne_u32_e64 v13, v16
	s_xor_b32 s5, exec_lo, s5
	s_cbranch_execnz .LBB1_342
; %bb.272:                              ;   in Loop: Header=BB1_214 Depth=2
	s_andn2_saveexec_b32 s5, s5
	s_cbranch_execnz .LBB1_343
.LBB1_273:                              ;   in Loop: Header=BB1_214 Depth=2
	s_or_b32 exec_lo, exec_lo, s5
	s_and_saveexec_b32 s5, s4
	s_cbranch_execz .LBB1_275
.LBB1_274:                              ;   in Loop: Header=BB1_214 Depth=2
	v_mov_b32_e32 v0, s51
	s_clause 0x7
	buffer_load_dword v1, off, s[0:3], 0 offset:16
	buffer_load_dword v5, off, s[0:3], 0 offset:20
	;; [unrolled: 1-line block ×3, first 2 shown]
	buffer_load_dword v9, v0, s[0:3], 0 offen
	buffer_load_dword v10, v0, s[0:3], 0 offen offset:4
	buffer_load_dword v11, v0, s[0:3], 0 offen offset:8
	;; [unrolled: 1-line block ×3, first 2 shown]
	buffer_load_dword v12, off, s[0:3], 0 offset:28
	s_waitcnt vmcnt(7)
	buffer_store_dword v1, v0, s[0:3], 0 offen
	s_waitcnt vmcnt(6)
	buffer_store_dword v5, v0, s[0:3], 0 offen offset:4
	s_waitcnt vmcnt(5)
	buffer_store_dword v6, v0, s[0:3], 0 offen offset:8
	s_waitcnt vmcnt(4)
	buffer_store_dword v9, off, s[0:3], 0 offset:16
	s_waitcnt vmcnt(3)
	buffer_store_dword v10, off, s[0:3], 0 offset:20
	;; [unrolled: 2-line block ×4, first 2 shown]
	s_waitcnt vmcnt(0)
	buffer_store_dword v12, v0, s[0:3], 0 offen offset:12
.LBB1_275:                              ;   in Loop: Header=BB1_214 Depth=2
	s_or_b32 exec_lo, exec_lo, s5
	s_mov_b32 s5, exec_lo
                                        ; implicit-def: $sgpr4
	v_cmpx_ne_u32_e64 v13, v15
	s_xor_b32 s5, exec_lo, s5
	s_cbranch_execnz .LBB1_348
; %bb.276:                              ;   in Loop: Header=BB1_214 Depth=2
	s_andn2_saveexec_b32 s5, s5
	s_cbranch_execnz .LBB1_349
.LBB1_277:                              ;   in Loop: Header=BB1_214 Depth=2
	s_or_b32 exec_lo, exec_lo, s5
	s_and_saveexec_b32 s5, s4
	s_cbranch_execz .LBB1_279
.LBB1_278:                              ;   in Loop: Header=BB1_214 Depth=2
	v_mov_b32_e32 v0, s58
	s_clause 0x7
	buffer_load_dword v1, off, s[0:3], 0 offset:16
	buffer_load_dword v2, off, s[0:3], 0 offset:20
	;; [unrolled: 1-line block ×3, first 2 shown]
	buffer_load_dword v6, v0, s[0:3], 0 offen
	buffer_load_dword v7, v0, s[0:3], 0 offen offset:4
	buffer_load_dword v9, v0, s[0:3], 0 offen offset:8
	;; [unrolled: 1-line block ×3, first 2 shown]
	buffer_load_dword v10, off, s[0:3], 0 offset:28
	s_waitcnt vmcnt(7)
	buffer_store_dword v1, v0, s[0:3], 0 offen
	s_waitcnt vmcnt(6)
	buffer_store_dword v2, v0, s[0:3], 0 offen offset:4
	s_waitcnt vmcnt(5)
	buffer_store_dword v5, v0, s[0:3], 0 offen offset:8
	s_waitcnt vmcnt(4)
	buffer_store_dword v6, off, s[0:3], 0 offset:16
	s_waitcnt vmcnt(3)
	buffer_store_dword v7, off, s[0:3], 0 offset:20
	;; [unrolled: 2-line block ×4, first 2 shown]
	s_waitcnt vmcnt(0)
	buffer_store_dword v10, v0, s[0:3], 0 offen offset:12
.LBB1_279:                              ;   in Loop: Header=BB1_214 Depth=2
	s_or_b32 exec_lo, exec_lo, s5
	s_mov_b32 s5, exec_lo
                                        ; implicit-def: $sgpr4
	v_cmpx_ne_u32_e64 v13, v14
	s_xor_b32 s5, exec_lo, s5
	s_cbranch_execnz .LBB1_354
; %bb.280:                              ;   in Loop: Header=BB1_214 Depth=2
	s_andn2_saveexec_b32 s5, s5
	s_cbranch_execnz .LBB1_355
.LBB1_281:                              ;   in Loop: Header=BB1_214 Depth=2
	s_or_b32 exec_lo, exec_lo, s5
	s_and_saveexec_b32 s5, s4
	s_cbranch_execz .LBB1_283
.LBB1_282:                              ;   in Loop: Header=BB1_214 Depth=2
	v_mov_b32_e32 v0, s59
	s_clause 0x7
	buffer_load_dword v1, off, s[0:3], 0 offset:16
	buffer_load_dword v2, off, s[0:3], 0 offset:20
	;; [unrolled: 1-line block ×3, first 2 shown]
	buffer_load_dword v5, v0, s[0:3], 0 offen
	buffer_load_dword v6, v0, s[0:3], 0 offen offset:4
	buffer_load_dword v7, v0, s[0:3], 0 offen offset:8
	;; [unrolled: 1-line block ×3, first 2 shown]
	buffer_load_dword v8, off, s[0:3], 0 offset:28
	s_waitcnt vmcnt(7)
	buffer_store_dword v1, v0, s[0:3], 0 offen
	s_waitcnt vmcnt(6)
	buffer_store_dword v2, v0, s[0:3], 0 offen offset:4
	s_waitcnt vmcnt(5)
	buffer_store_dword v3, v0, s[0:3], 0 offen offset:8
	s_waitcnt vmcnt(4)
	buffer_store_dword v5, off, s[0:3], 0 offset:16
	s_waitcnt vmcnt(3)
	buffer_store_dword v6, off, s[0:3], 0 offset:20
	;; [unrolled: 2-line block ×4, first 2 shown]
	s_waitcnt vmcnt(0)
	buffer_store_dword v8, v0, s[0:3], 0 offen offset:12
.LBB1_283:                              ;   in Loop: Header=BB1_214 Depth=2
	s_or_b32 exec_lo, exec_lo, s5
	buffer_load_dword v0, off, s[0:3], 0 offset:44
	s_mov_b32 s5, exec_lo
                                        ; implicit-def: $sgpr4
	s_waitcnt vmcnt(0)
	v_cmpx_ne_u32_e64 v0, v13
	s_xor_b32 s5, exec_lo, s5
	s_cbranch_execnz .LBB1_360
; %bb.284:                              ;   in Loop: Header=BB1_214 Depth=2
	s_andn2_saveexec_b32 s5, s5
	s_cbranch_execnz .LBB1_361
.LBB1_285:                              ;   in Loop: Header=BB1_214 Depth=2
	s_or_b32 exec_lo, exec_lo, s5
	s_and_saveexec_b32 s5, s4
	s_cbranch_execz .LBB1_287
.LBB1_286:                              ;   in Loop: Header=BB1_214 Depth=2
	buffer_load_dword v0, off, s[0:3], 0 offset:28
	v_mov_b32_e32 v1, s51
	s_clause 0x6
	buffer_load_dword v2, off, s[0:3], 0 offset:16
	buffer_load_dword v3, off, s[0:3], 0 offset:20
	buffer_load_dword v5, v1, s[0:3], 0 offen
	buffer_load_dword v6, off, s[0:3], 0 offset:24
	buffer_load_dword v7, v1, s[0:3], 0 offen offset:8
	buffer_load_dword v8, v1, s[0:3], 0 offen offset:4
	;; [unrolled: 1-line block ×3, first 2 shown]
	s_waitcnt vmcnt(7)
	buffer_store_dword v0, v1, s[0:3], 0 offen offset:12
	buffer_load_dword v0, off, s[0:3], 0 offset:44
	s_waitcnt vmcnt(7)
	buffer_store_dword v2, v1, s[0:3], 0 offen
	s_waitcnt vmcnt(6)
	buffer_store_dword v3, v1, s[0:3], 0 offen offset:4
	s_waitcnt vmcnt(4)
	buffer_store_dword v6, v1, s[0:3], 0 offen offset:8
	buffer_store_dword v5, off, s[0:3], 0 offset:16
	s_waitcnt vmcnt(2)
	buffer_store_dword v8, off, s[0:3], 0 offset:20
	buffer_store_dword v7, off, s[0:3], 0 offset:24
	s_waitcnt vmcnt(1)
	buffer_store_dword v9, off, s[0:3], 0 offset:28
.LBB1_287:                              ;   in Loop: Header=BB1_214 Depth=2
	s_or_b32 exec_lo, exec_lo, s5
	buffer_load_dword v1, off, s[0:3], 0 offset:60
	s_mov_b32 s5, exec_lo
                                        ; implicit-def: $sgpr4
	s_waitcnt vmcnt(0)
	v_cmpx_ne_u32_e64 v0, v1
	s_xor_b32 s5, exec_lo, s5
	s_cbranch_execnz .LBB1_366
; %bb.288:                              ;   in Loop: Header=BB1_214 Depth=2
	s_andn2_saveexec_b32 s5, s5
	s_cbranch_execnz .LBB1_367
.LBB1_289:                              ;   in Loop: Header=BB1_214 Depth=2
	s_or_b32 exec_lo, exec_lo, s5
	s_and_saveexec_b32 s5, s4
	s_cbranch_execz .LBB1_291
.LBB1_290:                              ;   in Loop: Header=BB1_214 Depth=2
	v_mov_b32_e32 v1, s58
	v_mov_b32_e32 v2, s51
	s_clause 0x7
	buffer_load_dword v0, v1, s[0:3], 0 offen offset:12
	buffer_load_dword v3, v2, s[0:3], 0 offen
	buffer_load_dword v5, v1, s[0:3], 0 offen
	buffer_load_dword v6, v1, s[0:3], 0 offen offset:4
	buffer_load_dword v7, v1, s[0:3], 0 offen offset:8
	;; [unrolled: 1-line block ×5, first 2 shown]
	s_waitcnt vmcnt(7)
	buffer_store_dword v0, v2, s[0:3], 0 offen offset:12
	buffer_load_dword v0, off, s[0:3], 0 offset:44
	s_waitcnt vmcnt(6)
	buffer_store_dword v5, v2, s[0:3], 0 offen
	s_waitcnt vmcnt(5)
	buffer_store_dword v6, v2, s[0:3], 0 offen offset:4
	s_waitcnt vmcnt(4)
	buffer_store_dword v7, v2, s[0:3], 0 offen offset:8
	buffer_store_dword v3, v1, s[0:3], 0 offen
	s_waitcnt vmcnt(3)
	buffer_store_dword v8, v1, s[0:3], 0 offen offset:4
	s_waitcnt vmcnt(2)
	buffer_store_dword v9, v1, s[0:3], 0 offen offset:8
	;; [unrolled: 2-line block ×3, first 2 shown]
.LBB1_291:                              ;   in Loop: Header=BB1_214 Depth=2
	s_or_b32 exec_lo, exec_lo, s5
	buffer_load_dword v1, off, s[0:3], 0 offset:76
	s_mov_b32 s5, exec_lo
                                        ; implicit-def: $sgpr4
	s_waitcnt vmcnt(0)
	v_cmpx_ne_u32_e64 v0, v1
	s_xor_b32 s5, exec_lo, s5
	s_cbranch_execnz .LBB1_372
; %bb.292:                              ;   in Loop: Header=BB1_214 Depth=2
	s_andn2_saveexec_b32 s5, s5
	s_cbranch_execnz .LBB1_373
.LBB1_293:                              ;   in Loop: Header=BB1_214 Depth=2
	s_or_b32 exec_lo, exec_lo, s5
	s_and_saveexec_b32 s5, s4
	s_cbranch_execz .LBB1_295
.LBB1_294:                              ;   in Loop: Header=BB1_214 Depth=2
	v_mov_b32_e32 v0, s59
	v_mov_b32_e32 v1, s51
	s_clause 0x7
	buffer_load_dword v2, v0, s[0:3], 0 offen
	buffer_load_dword v3, v0, s[0:3], 0 offen offset:4
	buffer_load_dword v5, v0, s[0:3], 0 offen offset:8
	buffer_load_dword v6, v0, s[0:3], 0 offen offset:12
	buffer_load_dword v7, v1, s[0:3], 0 offen
	buffer_load_dword v8, v1, s[0:3], 0 offen offset:4
	buffer_load_dword v9, v1, s[0:3], 0 offen offset:8
	;; [unrolled: 1-line block ×3, first 2 shown]
	s_waitcnt vmcnt(7)
	buffer_store_dword v2, v1, s[0:3], 0 offen
	s_waitcnt vmcnt(6)
	buffer_store_dword v3, v1, s[0:3], 0 offen offset:4
	s_waitcnt vmcnt(5)
	buffer_store_dword v5, v1, s[0:3], 0 offen offset:8
	;; [unrolled: 2-line block ×3, first 2 shown]
	s_waitcnt vmcnt(3)
	buffer_store_dword v7, v0, s[0:3], 0 offen
	s_waitcnt vmcnt(2)
	buffer_store_dword v8, v0, s[0:3], 0 offen offset:4
	s_waitcnt vmcnt(1)
	buffer_store_dword v9, v0, s[0:3], 0 offen offset:8
	;; [unrolled: 2-line block ×3, first 2 shown]
.LBB1_295:                              ;   in Loop: Header=BB1_214 Depth=2
	s_or_b32 exec_lo, exec_lo, s5
	s_clause 0x1
	buffer_load_dword v0, off, s[0:3], 0 offset:28
	buffer_load_dword v1, off, s[0:3], 0 offset:60
	s_mov_b32 s5, exec_lo
                                        ; implicit-def: $sgpr4
	s_waitcnt vmcnt(0)
	v_cmpx_ne_u32_e64 v1, v0
	s_xor_b32 s5, exec_lo, s5
	s_cbranch_execnz .LBB1_378
; %bb.296:                              ;   in Loop: Header=BB1_214 Depth=2
	s_andn2_saveexec_b32 s5, s5
	s_cbranch_execnz .LBB1_379
.LBB1_297:                              ;   in Loop: Header=BB1_214 Depth=2
	s_or_b32 exec_lo, exec_lo, s5
	s_and_saveexec_b32 s5, s4
	s_cbranch_execz .LBB1_299
.LBB1_298:                              ;   in Loop: Header=BB1_214 Depth=2
	buffer_load_dword v0, off, s[0:3], 0 offset:28
	v_mov_b32_e32 v2, s58
	s_clause 0x6
	buffer_load_dword v3, off, s[0:3], 0 offset:16
	buffer_load_dword v5, off, s[0:3], 0 offset:20
	buffer_load_dword v6, v2, s[0:3], 0 offen
	buffer_load_dword v7, off, s[0:3], 0 offset:24
	buffer_load_dword v8, v2, s[0:3], 0 offen offset:8
	buffer_load_dword v9, v2, s[0:3], 0 offen offset:4
	;; [unrolled: 1-line block ×3, first 2 shown]
	s_waitcnt vmcnt(7)
	buffer_store_dword v0, v2, s[0:3], 0 offen offset:12
	buffer_load_dword v1, off, s[0:3], 0 offset:60
	s_waitcnt vmcnt(7)
	buffer_store_dword v3, v2, s[0:3], 0 offen
	s_waitcnt vmcnt(6)
	buffer_store_dword v5, v2, s[0:3], 0 offen offset:4
	s_waitcnt vmcnt(4)
	buffer_store_dword v7, v2, s[0:3], 0 offen offset:8
	buffer_store_dword v6, off, s[0:3], 0 offset:16
	s_waitcnt vmcnt(2)
	buffer_store_dword v9, off, s[0:3], 0 offset:20
	buffer_store_dword v8, off, s[0:3], 0 offset:24
	s_waitcnt vmcnt(1)
	buffer_store_dword v10, off, s[0:3], 0 offset:28
.LBB1_299:                              ;   in Loop: Header=BB1_214 Depth=2
	s_or_b32 exec_lo, exec_lo, s5
	buffer_load_dword v0, off, s[0:3], 0 offset:44
	s_mov_b32 s5, exec_lo
                                        ; implicit-def: $sgpr4
	s_waitcnt vmcnt(0)
	v_cmpx_ne_u32_e64 v1, v0
	s_xor_b32 s5, exec_lo, s5
	s_cbranch_execnz .LBB1_384
; %bb.300:                              ;   in Loop: Header=BB1_214 Depth=2
	s_andn2_saveexec_b32 s5, s5
	s_cbranch_execnz .LBB1_385
.LBB1_301:                              ;   in Loop: Header=BB1_214 Depth=2
	s_or_b32 exec_lo, exec_lo, s5
	s_and_saveexec_b32 s5, s4
	s_cbranch_execz .LBB1_303
.LBB1_302:                              ;   in Loop: Header=BB1_214 Depth=2
	v_mov_b32_e32 v0, s51
	v_mov_b32_e32 v2, s58
	s_clause 0x7
	buffer_load_dword v1, v0, s[0:3], 0 offen offset:12
	buffer_load_dword v3, v2, s[0:3], 0 offen
	buffer_load_dword v5, v0, s[0:3], 0 offen
	buffer_load_dword v6, v0, s[0:3], 0 offen offset:4
	buffer_load_dword v7, v0, s[0:3], 0 offen offset:8
	;; [unrolled: 1-line block ×5, first 2 shown]
	s_waitcnt vmcnt(7)
	buffer_store_dword v1, v2, s[0:3], 0 offen offset:12
	buffer_load_dword v1, off, s[0:3], 0 offset:60
	s_waitcnt vmcnt(6)
	buffer_store_dword v5, v2, s[0:3], 0 offen
	s_waitcnt vmcnt(5)
	buffer_store_dword v6, v2, s[0:3], 0 offen offset:4
	s_waitcnt vmcnt(4)
	buffer_store_dword v7, v2, s[0:3], 0 offen offset:8
	buffer_store_dword v3, v0, s[0:3], 0 offen
	s_waitcnt vmcnt(3)
	buffer_store_dword v8, v0, s[0:3], 0 offen offset:4
	s_waitcnt vmcnt(2)
	buffer_store_dword v9, v0, s[0:3], 0 offen offset:8
	;; [unrolled: 2-line block ×3, first 2 shown]
.LBB1_303:                              ;   in Loop: Header=BB1_214 Depth=2
	s_or_b32 exec_lo, exec_lo, s5
	buffer_load_dword v0, off, s[0:3], 0 offset:76
	s_mov_b32 s5, exec_lo
                                        ; implicit-def: $sgpr4
	s_waitcnt vmcnt(0)
	v_cmpx_ne_u32_e64 v1, v0
	s_xor_b32 s5, exec_lo, s5
	s_cbranch_execnz .LBB1_390
; %bb.304:                              ;   in Loop: Header=BB1_214 Depth=2
	s_andn2_saveexec_b32 s5, s5
	s_cbranch_execnz .LBB1_391
.LBB1_305:                              ;   in Loop: Header=BB1_214 Depth=2
	s_or_b32 exec_lo, exec_lo, s5
	s_and_saveexec_b32 s5, s4
	s_cbranch_execz .LBB1_307
.LBB1_306:                              ;   in Loop: Header=BB1_214 Depth=2
	v_mov_b32_e32 v1, s58
	v_mov_b32_e32 v2, s59
	s_clause 0x7
	buffer_load_dword v0, v1, s[0:3], 0 offen offset:12
	buffer_load_dword v3, v2, s[0:3], 0 offen offset:12
	buffer_load_dword v5, v2, s[0:3], 0 offen
	buffer_load_dword v6, v2, s[0:3], 0 offen offset:4
	buffer_load_dword v7, v2, s[0:3], 0 offen offset:8
	buffer_load_dword v8, v1, s[0:3], 0 offen
	buffer_load_dword v9, v1, s[0:3], 0 offen offset:4
	buffer_load_dword v10, v1, s[0:3], 0 offen offset:8
	s_waitcnt vmcnt(7)
	buffer_store_dword v0, v2, s[0:3], 0 offen offset:12
	buffer_load_dword v0, off, s[0:3], 0 offset:76
	s_waitcnt vmcnt(6)
	buffer_store_dword v5, v1, s[0:3], 0 offen
	s_waitcnt vmcnt(5)
	buffer_store_dword v6, v1, s[0:3], 0 offen offset:4
	s_waitcnt vmcnt(4)
	buffer_store_dword v7, v1, s[0:3], 0 offen offset:8
	buffer_store_dword v3, v1, s[0:3], 0 offen offset:12
	s_waitcnt vmcnt(3)
	buffer_store_dword v8, v2, s[0:3], 0 offen
	s_waitcnt vmcnt(2)
	buffer_store_dword v9, v2, s[0:3], 0 offen offset:4
	s_waitcnt vmcnt(1)
	buffer_store_dword v10, v2, s[0:3], 0 offen offset:8
.LBB1_307:                              ;   in Loop: Header=BB1_214 Depth=2
	s_or_b32 exec_lo, exec_lo, s5
	buffer_load_dword v1, off, s[0:3], 0 offset:28
	s_mov_b32 s5, exec_lo
                                        ; implicit-def: $sgpr4
	s_waitcnt vmcnt(0)
	v_cmpx_ne_u32_e64 v0, v1
	s_xor_b32 s5, exec_lo, s5
	s_cbranch_execnz .LBB1_396
; %bb.308:                              ;   in Loop: Header=BB1_214 Depth=2
	s_andn2_saveexec_b32 s5, s5
	s_cbranch_execnz .LBB1_397
.LBB1_309:                              ;   in Loop: Header=BB1_214 Depth=2
	s_or_b32 exec_lo, exec_lo, s5
	s_and_saveexec_b32 s5, s4
	s_cbranch_execz .LBB1_311
.LBB1_310:                              ;   in Loop: Header=BB1_214 Depth=2
	buffer_load_dword v0, off, s[0:3], 0 offset:28
	v_mov_b32_e32 v1, s59
	s_clause 0x6
	buffer_load_dword v2, off, s[0:3], 0 offset:16
	buffer_load_dword v3, off, s[0:3], 0 offset:20
	buffer_load_dword v5, v1, s[0:3], 0 offen
	buffer_load_dword v6, off, s[0:3], 0 offset:24
	buffer_load_dword v7, v1, s[0:3], 0 offen offset:8
	buffer_load_dword v8, v1, s[0:3], 0 offen offset:4
	;; [unrolled: 1-line block ×3, first 2 shown]
	s_waitcnt vmcnt(7)
	buffer_store_dword v0, v1, s[0:3], 0 offen offset:12
	buffer_load_dword v0, off, s[0:3], 0 offset:76
	s_waitcnt vmcnt(7)
	buffer_store_dword v2, v1, s[0:3], 0 offen
	s_waitcnt vmcnt(6)
	buffer_store_dword v3, v1, s[0:3], 0 offen offset:4
	s_waitcnt vmcnt(4)
	buffer_store_dword v6, v1, s[0:3], 0 offen offset:8
	buffer_store_dword v5, off, s[0:3], 0 offset:16
	s_waitcnt vmcnt(2)
	buffer_store_dword v8, off, s[0:3], 0 offset:20
	buffer_store_dword v7, off, s[0:3], 0 offset:24
	s_waitcnt vmcnt(1)
	buffer_store_dword v9, off, s[0:3], 0 offset:28
.LBB1_311:                              ;   in Loop: Header=BB1_214 Depth=2
	s_or_b32 exec_lo, exec_lo, s5
	buffer_load_dword v1, off, s[0:3], 0 offset:44
	s_mov_b32 s5, exec_lo
                                        ; implicit-def: $sgpr4
	s_waitcnt vmcnt(0)
	v_cmpx_ne_u32_e64 v0, v1
	s_xor_b32 s5, exec_lo, s5
	s_cbranch_execnz .LBB1_402
; %bb.312:                              ;   in Loop: Header=BB1_214 Depth=2
	s_andn2_saveexec_b32 s5, s5
	s_cbranch_execnz .LBB1_403
.LBB1_313:                              ;   in Loop: Header=BB1_214 Depth=2
	s_or_b32 exec_lo, exec_lo, s5
	s_and_saveexec_b32 s5, s4
	s_cbranch_execz .LBB1_315
.LBB1_314:                              ;   in Loop: Header=BB1_214 Depth=2
	v_mov_b32_e32 v1, s51
	v_mov_b32_e32 v2, s59
	s_clause 0x7
	buffer_load_dword v0, v1, s[0:3], 0 offen offset:12
	buffer_load_dword v3, v2, s[0:3], 0 offen
	buffer_load_dword v5, v1, s[0:3], 0 offen
	buffer_load_dword v6, v1, s[0:3], 0 offen offset:4
	buffer_load_dword v7, v1, s[0:3], 0 offen offset:8
	;; [unrolled: 1-line block ×5, first 2 shown]
	s_waitcnt vmcnt(7)
	buffer_store_dword v0, v2, s[0:3], 0 offen offset:12
	buffer_load_dword v0, off, s[0:3], 0 offset:76
	s_waitcnt vmcnt(6)
	buffer_store_dword v5, v2, s[0:3], 0 offen
	s_waitcnt vmcnt(5)
	buffer_store_dword v6, v2, s[0:3], 0 offen offset:4
	s_waitcnt vmcnt(4)
	buffer_store_dword v7, v2, s[0:3], 0 offen offset:8
	buffer_store_dword v3, v1, s[0:3], 0 offen
	s_waitcnt vmcnt(3)
	buffer_store_dword v8, v1, s[0:3], 0 offen offset:4
	s_waitcnt vmcnt(2)
	buffer_store_dword v9, v1, s[0:3], 0 offen offset:8
	;; [unrolled: 2-line block ×3, first 2 shown]
.LBB1_315:                              ;   in Loop: Header=BB1_214 Depth=2
	s_or_b32 exec_lo, exec_lo, s5
	buffer_load_dword v1, off, s[0:3], 0 offset:60
	s_mov_b32 s5, exec_lo
                                        ; implicit-def: $sgpr4
	s_waitcnt vmcnt(0)
	v_cmpx_ne_u32_e64 v0, v1
	s_xor_b32 s5, exec_lo, s5
	s_cbranch_execnz .LBB1_408
; %bb.316:                              ;   in Loop: Header=BB1_214 Depth=2
	s_andn2_saveexec_b32 s5, s5
	s_cbranch_execnz .LBB1_409
.LBB1_317:                              ;   in Loop: Header=BB1_214 Depth=2
	s_or_b32 exec_lo, exec_lo, s5
	s_and_saveexec_b32 s5, s4
	s_cbranch_execz .LBB1_319
.LBB1_318:                              ;   in Loop: Header=BB1_214 Depth=2
	v_mov_b32_e32 v0, s58
	v_mov_b32_e32 v1, s59
	s_clause 0x7
	buffer_load_dword v2, v0, s[0:3], 0 offen
	buffer_load_dword v3, v0, s[0:3], 0 offen offset:4
	buffer_load_dword v5, v0, s[0:3], 0 offen offset:8
	;; [unrolled: 1-line block ×3, first 2 shown]
	buffer_load_dword v7, v1, s[0:3], 0 offen
	buffer_load_dword v8, v1, s[0:3], 0 offen offset:4
	buffer_load_dword v9, v1, s[0:3], 0 offen offset:8
	;; [unrolled: 1-line block ×3, first 2 shown]
	s_waitcnt vmcnt(7)
	buffer_store_dword v2, v1, s[0:3], 0 offen
	s_waitcnt vmcnt(6)
	buffer_store_dword v3, v1, s[0:3], 0 offen offset:4
	s_waitcnt vmcnt(5)
	buffer_store_dword v5, v1, s[0:3], 0 offen offset:8
	;; [unrolled: 2-line block ×3, first 2 shown]
	s_waitcnt vmcnt(3)
	buffer_store_dword v7, v0, s[0:3], 0 offen
	s_waitcnt vmcnt(2)
	buffer_store_dword v8, v0, s[0:3], 0 offen offset:4
	s_waitcnt vmcnt(1)
	buffer_store_dword v9, v0, s[0:3], 0 offen offset:8
	;; [unrolled: 2-line block ×3, first 2 shown]
.LBB1_319:                              ;   in Loop: Header=BB1_214 Depth=2
	s_or_b32 exec_lo, exec_lo, s5
	s_clause 0x1
	buffer_load_dword v29, off, s[0:3], 0 offset:28
	buffer_load_dword v28, off, s[0:3], 0 offset:44
	s_mov_b32 s21, exec_lo
	s_waitcnt vmcnt(0)
	v_cmpx_lt_i32_e64 v29, v28
	s_cbranch_execz .LBB1_524
; %bb.320:                              ;   in Loop: Header=BB1_214 Depth=2
	s_load_dwordx2 s[6:7], s[52:53], 0x50
	v_readfirstlane_b32 s4, v83
	v_mov_b32_e32 v5, 0
	v_mov_b32_e32 v6, 0
	v_cmp_eq_u32_e64 s4, s4, v83
	s_and_saveexec_b32 s5, s4
	s_cbranch_execz .LBB1_326
; %bb.321:                              ;   in Loop: Header=BB1_214 Depth=2
	s_waitcnt lgkmcnt(0)
	global_load_dwordx2 v[2:3], v44, s[6:7] offset:24 glc dlc
	s_waitcnt vmcnt(0)
	buffer_gl1_inv
	buffer_gl0_inv
	s_clause 0x1
	global_load_dwordx2 v[0:1], v44, s[6:7] offset:40
	global_load_dwordx2 v[5:6], v44, s[6:7]
	s_mov_b32 s8, exec_lo
	s_waitcnt vmcnt(1)
	v_and_b32_e32 v1, v1, v3
	v_and_b32_e32 v0, v0, v2
	v_mul_lo_u32 v1, v1, 24
	v_mul_hi_u32 v7, v0, 24
	v_mul_lo_u32 v0, v0, 24
	v_add_nc_u32_e32 v1, v7, v1
	s_waitcnt vmcnt(0)
	v_add_co_u32 v0, vcc_lo, v5, v0
	v_add_co_ci_u32_e64 v1, null, v6, v1, vcc_lo
	global_load_dwordx2 v[0:1], v[0:1], off glc dlc
	s_waitcnt vmcnt(0)
	global_atomic_cmpswap_x2 v[5:6], v44, v[0:3], s[6:7] offset:24 glc
	s_waitcnt vmcnt(0)
	buffer_gl1_inv
	buffer_gl0_inv
	v_cmpx_ne_u64_e64 v[5:6], v[2:3]
	s_cbranch_execz .LBB1_325
; %bb.322:                              ;   in Loop: Header=BB1_214 Depth=2
	s_mov_b32 s9, 0
	.p2align	6
.LBB1_323:                              ;   Parent Loop BB1_13 Depth=1
                                        ;     Parent Loop BB1_214 Depth=2
                                        ; =>    This Inner Loop Header: Depth=3
	s_sleep 1
	s_clause 0x1
	global_load_dwordx2 v[0:1], v44, s[6:7] offset:40
	global_load_dwordx2 v[7:8], v44, s[6:7]
	v_mov_b32_e32 v2, v5
	v_mov_b32_e32 v3, v6
	s_waitcnt vmcnt(1)
	v_and_b32_e32 v0, v0, v2
	v_and_b32_e32 v1, v1, v3
	s_waitcnt vmcnt(0)
	v_mad_u64_u32 v[5:6], null, v0, 24, v[7:8]
	v_mov_b32_e32 v0, v6
	v_mad_u64_u32 v[0:1], null, v1, 24, v[0:1]
	v_mov_b32_e32 v6, v0
	global_load_dwordx2 v[0:1], v[5:6], off glc dlc
	s_waitcnt vmcnt(0)
	global_atomic_cmpswap_x2 v[5:6], v44, v[0:3], s[6:7] offset:24 glc
	s_waitcnt vmcnt(0)
	buffer_gl1_inv
	buffer_gl0_inv
	v_cmp_eq_u64_e32 vcc_lo, v[5:6], v[2:3]
	s_or_b32 s9, vcc_lo, s9
	s_andn2_b32 exec_lo, exec_lo, s9
	s_cbranch_execnz .LBB1_323
; %bb.324:                              ;   in Loop: Header=BB1_214 Depth=2
	s_or_b32 exec_lo, exec_lo, s9
.LBB1_325:                              ;   in Loop: Header=BB1_214 Depth=2
	s_or_b32 exec_lo, exec_lo, s8
.LBB1_326:                              ;   in Loop: Header=BB1_214 Depth=2
	s_or_b32 exec_lo, exec_lo, s5
	s_waitcnt lgkmcnt(0)
	s_clause 0x1
	global_load_dwordx2 v[7:8], v44, s[6:7] offset:40
	global_load_dwordx4 v[0:3], v44, s[6:7]
	v_readfirstlane_b32 s9, v6
	v_readfirstlane_b32 s8, v5
	s_mov_b32 s5, exec_lo
	s_waitcnt vmcnt(1)
	v_readfirstlane_b32 s10, v7
	v_readfirstlane_b32 s11, v8
	s_and_b64 s[10:11], s[10:11], s[8:9]
	s_mul_i32 s12, s11, 24
	s_mul_hi_u32 s13, s10, 24
	s_mul_i32 s14, s10, 24
	s_add_i32 s13, s13, s12
	s_waitcnt vmcnt(0)
	v_add_co_u32 v5, vcc_lo, v0, s14
	v_add_co_ci_u32_e64 v6, null, s13, v1, vcc_lo
	s_and_saveexec_b32 s12, s4
	s_cbranch_execz .LBB1_328
; %bb.327:                              ;   in Loop: Header=BB1_214 Depth=2
	v_mov_b32_e32 v43, s5
	global_store_dwordx4 v[5:6], v[43:46], off offset:8
.LBB1_328:                              ;   in Loop: Header=BB1_214 Depth=2
	s_or_b32 exec_lo, exec_lo, s12
	s_lshl_b64 s[10:11], s[10:11], 12
	s_mov_b32 s41, s40
	v_add_co_u32 v9, vcc_lo, v2, s10
	v_add_co_ci_u32_e64 v10, null, s11, v3, vcc_lo
	s_mov_b32 s42, s40
	s_mov_b32 s43, s40
	v_lshlrev_b32_e32 v30, 6, v83
	v_mov_b32_e32 v52, v44
	v_mov_b32_e32 v53, v44
	;; [unrolled: 1-line block ×3, first 2 shown]
	v_readfirstlane_b32 s10, v9
	v_readfirstlane_b32 s11, v10
	v_mov_b32_e32 v11, s40
	v_mov_b32_e32 v12, s41
	;; [unrolled: 1-line block ×4, first 2 shown]
	global_store_dwordx4 v30, v[51:54], s[10:11]
	global_store_dwordx4 v30, v[11:14], s[10:11] offset:16
	global_store_dwordx4 v30, v[11:14], s[10:11] offset:32
	;; [unrolled: 1-line block ×3, first 2 shown]
	s_and_saveexec_b32 s5, s4
	s_cbranch_execz .LBB1_336
; %bb.329:                              ;   in Loop: Header=BB1_214 Depth=2
	s_clause 0x1
	global_load_dwordx2 v[13:14], v44, s[6:7] offset:32 glc dlc
	global_load_dwordx2 v[2:3], v44, s[6:7] offset:40
	v_mov_b32_e32 v11, s8
	v_mov_b32_e32 v12, s9
	s_mov_b32 s10, exec_lo
	s_waitcnt vmcnt(0)
	v_and_b32_e32 v3, s9, v3
	v_and_b32_e32 v2, s8, v2
	v_mul_lo_u32 v3, v3, 24
	v_mul_hi_u32 v7, v2, 24
	v_mul_lo_u32 v2, v2, 24
	v_add_nc_u32_e32 v3, v7, v3
	v_add_co_u32 v7, vcc_lo, v0, v2
	v_add_co_ci_u32_e64 v8, null, v1, v3, vcc_lo
	global_store_dwordx2 v[7:8], v[13:14], off
	s_waitcnt_vscnt null, 0x0
	global_atomic_cmpswap_x2 v[2:3], v44, v[11:14], s[6:7] offset:32 glc
	s_waitcnt vmcnt(0)
	v_cmpx_ne_u64_e64 v[2:3], v[13:14]
	s_cbranch_execz .LBB1_332
; %bb.330:                              ;   in Loop: Header=BB1_214 Depth=2
	s_mov_b32 s11, 0
.LBB1_331:                              ;   Parent Loop BB1_13 Depth=1
                                        ;     Parent Loop BB1_214 Depth=2
                                        ; =>    This Inner Loop Header: Depth=3
	v_mov_b32_e32 v0, s8
	v_mov_b32_e32 v1, s9
	s_sleep 1
	global_store_dwordx2 v[7:8], v[2:3], off
	s_waitcnt_vscnt null, 0x0
	global_atomic_cmpswap_x2 v[0:1], v44, v[0:3], s[6:7] offset:32 glc
	s_waitcnt vmcnt(0)
	v_cmp_eq_u64_e32 vcc_lo, v[0:1], v[2:3]
	v_mov_b32_e32 v3, v1
	v_mov_b32_e32 v2, v0
	s_or_b32 s11, vcc_lo, s11
	s_andn2_b32 exec_lo, exec_lo, s11
	s_cbranch_execnz .LBB1_331
.LBB1_332:                              ;   in Loop: Header=BB1_214 Depth=2
	s_or_b32 exec_lo, exec_lo, s10
	global_load_dwordx2 v[0:1], v44, s[6:7] offset:16
	s_mov_b32 s11, exec_lo
	s_mov_b32 s10, exec_lo
	v_mbcnt_lo_u32_b32 v2, s11, 0
	v_cmpx_eq_u32_e32 0, v2
	s_cbranch_execz .LBB1_334
; %bb.333:                              ;   in Loop: Header=BB1_214 Depth=2
	s_bcnt1_i32_b32 s11, s11
	v_mov_b32_e32 v43, s11
	s_waitcnt vmcnt(0)
	global_atomic_add_x2 v[0:1], v[43:44], off offset:8
.LBB1_334:                              ;   in Loop: Header=BB1_214 Depth=2
	s_or_b32 exec_lo, exec_lo, s10
	s_waitcnt vmcnt(0)
	global_load_dwordx2 v[2:3], v[0:1], off offset:16
	s_waitcnt vmcnt(0)
	v_cmp_eq_u64_e32 vcc_lo, 0, v[2:3]
	s_cbranch_vccnz .LBB1_336
; %bb.335:                              ;   in Loop: Header=BB1_214 Depth=2
	global_load_dword v43, v[0:1], off offset:24
	s_waitcnt vmcnt(0)
	v_readfirstlane_b32 s10, v43
	s_waitcnt_vscnt null, 0x0
	global_store_dwordx2 v[2:3], v[43:44], off
	s_and_b32 m0, s10, 0x7fffff
	s_sendmsg sendmsg(MSG_INTERRUPT)
.LBB1_336:                              ;   in Loop: Header=BB1_214 Depth=2
	s_or_b32 exec_lo, exec_lo, s5
	v_add_co_u32 v0, vcc_lo, v9, v30
	v_add_co_ci_u32_e64 v1, null, 0, v10, vcc_lo
	s_branch .LBB1_340
	.p2align	6
.LBB1_337:                              ;   in Loop: Header=BB1_340 Depth=3
	s_or_b32 exec_lo, exec_lo, s5
	v_readfirstlane_b32 s5, v2
	s_cmp_eq_u32 s5, 0
	s_cbranch_scc1 .LBB1_339
; %bb.338:                              ;   in Loop: Header=BB1_340 Depth=3
	s_sleep 1
	s_cbranch_execnz .LBB1_340
	s_branch .LBB1_414
	.p2align	6
.LBB1_339:                              ;   in Loop: Header=BB1_214 Depth=2
	s_branch .LBB1_414
.LBB1_340:                              ;   Parent Loop BB1_13 Depth=1
                                        ;     Parent Loop BB1_214 Depth=2
                                        ; =>    This Inner Loop Header: Depth=3
	v_mov_b32_e32 v2, 1
	s_and_saveexec_b32 s5, s4
	s_cbranch_execz .LBB1_337
; %bb.341:                              ;   in Loop: Header=BB1_340 Depth=3
	global_load_dword v2, v[5:6], off offset:20 glc dlc
	s_waitcnt vmcnt(0)
	buffer_gl1_inv
	buffer_gl0_inv
	v_and_b32_e32 v2, 1, v2
	s_branch .LBB1_337
.LBB1_342:                              ;   in Loop: Header=BB1_214 Depth=2
	v_cmp_gt_u32_e64 s4, v13, v16
	s_andn2_saveexec_b32 s5, s5
	s_cbranch_execz .LBB1_273
.LBB1_343:                              ;   in Loop: Header=BB1_214 Depth=2
	s_mov_b32 s7, exec_lo
                                        ; implicit-def: $sgpr6
	v_cmpx_ne_u32_e64 v5, v6
	s_xor_b32 s7, exec_lo, s7
; %bb.344:                              ;   in Loop: Header=BB1_214 Depth=2
	v_cmp_gt_u32_e64 s6, v5, v6
; %bb.345:                              ;   in Loop: Header=BB1_214 Depth=2
	s_andn2_saveexec_b32 s7, s7
; %bb.346:                              ;   in Loop: Header=BB1_214 Depth=2
	v_cmp_ge_u32_e32 vcc_lo, v0, v1
	s_andn2_b32 s6, s6, exec_lo
	s_and_b32 s8, vcc_lo, exec_lo
	s_or_b32 s6, s6, s8
; %bb.347:                              ;   in Loop: Header=BB1_214 Depth=2
	s_or_b32 exec_lo, exec_lo, s7
	s_andn2_b32 s4, s4, exec_lo
	s_and_b32 s6, s6, exec_lo
	s_or_b32 s4, s4, s6
	s_or_b32 exec_lo, exec_lo, s5
	s_and_saveexec_b32 s5, s4
	s_cbranch_execnz .LBB1_274
	s_branch .LBB1_275
.LBB1_348:                              ;   in Loop: Header=BB1_214 Depth=2
	v_cmp_gt_u32_e64 s4, v13, v15
	s_andn2_saveexec_b32 s5, s5
	s_cbranch_execz .LBB1_277
.LBB1_349:                              ;   in Loop: Header=BB1_214 Depth=2
	buffer_load_dword v0, off, s[0:3], 0 offset:20
	s_mov_b32 s7, exec_lo
                                        ; implicit-def: $sgpr6
	s_waitcnt vmcnt(0)
	v_cmpx_ne_u32_e64 v0, v7
	s_xor_b32 s7, exec_lo, s7
; %bb.350:                              ;   in Loop: Header=BB1_214 Depth=2
	v_cmp_gt_u32_e64 s6, v0, v7
; %bb.351:                              ;   in Loop: Header=BB1_214 Depth=2
	s_andn2_saveexec_b32 s7, s7
	s_cbranch_execz .LBB1_353
; %bb.352:                              ;   in Loop: Header=BB1_214 Depth=2
	buffer_load_dword v0, off, s[0:3], 0 offset:24
	s_andn2_b32 s6, s6, exec_lo
	s_waitcnt vmcnt(0)
	v_cmp_ge_u32_e32 vcc_lo, v0, v2
	s_and_b32 s8, vcc_lo, exec_lo
	s_or_b32 s6, s6, s8
.LBB1_353:                              ;   in Loop: Header=BB1_214 Depth=2
	s_or_b32 exec_lo, exec_lo, s7
	s_andn2_b32 s4, s4, exec_lo
	s_and_b32 s6, s6, exec_lo
	s_or_b32 s4, s4, s6
	s_or_b32 exec_lo, exec_lo, s5
	s_and_saveexec_b32 s5, s4
	s_cbranch_execnz .LBB1_278
	s_branch .LBB1_279
.LBB1_354:                              ;   in Loop: Header=BB1_214 Depth=2
	v_cmp_gt_u32_e64 s4, v13, v14
                                        ; implicit-def: $vgpr0_vgpr1_vgpr2_vgpr3
                                        ; implicit-def: $vgpr5_vgpr6_vgpr7_vgpr8
	s_andn2_saveexec_b32 s5, s5
	s_cbranch_execz .LBB1_281
.LBB1_355:                              ;   in Loop: Header=BB1_214 Depth=2
	buffer_load_dword v0, off, s[0:3], 0 offset:20
	s_mov_b32 s7, exec_lo
                                        ; implicit-def: $sgpr6
	s_waitcnt vmcnt(0)
	v_cmpx_ne_u32_e64 v0, v8
	s_xor_b32 s7, exec_lo, s7
; %bb.356:                              ;   in Loop: Header=BB1_214 Depth=2
	v_cmp_gt_u32_e64 s6, v0, v8
                                        ; implicit-def: $vgpr0_vgpr1_vgpr2_vgpr3
; %bb.357:                              ;   in Loop: Header=BB1_214 Depth=2
	s_andn2_saveexec_b32 s7, s7
	s_cbranch_execz .LBB1_359
; %bb.358:                              ;   in Loop: Header=BB1_214 Depth=2
	buffer_load_dword v0, off, s[0:3], 0 offset:24
	s_andn2_b32 s6, s6, exec_lo
	s_waitcnt vmcnt(0)
	v_cmp_ge_u32_e32 vcc_lo, v0, v3
	s_and_b32 s8, vcc_lo, exec_lo
	s_or_b32 s6, s6, s8
.LBB1_359:                              ;   in Loop: Header=BB1_214 Depth=2
	s_or_b32 exec_lo, exec_lo, s7
	s_andn2_b32 s4, s4, exec_lo
	s_and_b32 s6, s6, exec_lo
	s_or_b32 s4, s4, s6
	s_or_b32 exec_lo, exec_lo, s5
	s_and_saveexec_b32 s5, s4
	s_cbranch_execnz .LBB1_282
	s_branch .LBB1_283
.LBB1_360:                              ;   in Loop: Header=BB1_214 Depth=2
	v_cmp_gt_u32_e64 s4, v0, v13
	s_andn2_saveexec_b32 s5, s5
	s_cbranch_execz .LBB1_285
.LBB1_361:                              ;   in Loop: Header=BB1_214 Depth=2
	s_clause 0x1
	buffer_load_dword v1, off, s[0:3], 0 offset:20
	buffer_load_dword v2, off, s[0:3], 0 offset:36
	s_mov_b32 s7, exec_lo
                                        ; implicit-def: $sgpr6
	s_waitcnt vmcnt(0)
	v_cmpx_ne_u32_e64 v2, v1
	s_xor_b32 s7, exec_lo, s7
; %bb.362:                              ;   in Loop: Header=BB1_214 Depth=2
	v_cmp_gt_u32_e64 s6, v2, v1
; %bb.363:                              ;   in Loop: Header=BB1_214 Depth=2
	s_andn2_saveexec_b32 s7, s7
	s_cbranch_execz .LBB1_365
; %bb.364:                              ;   in Loop: Header=BB1_214 Depth=2
	s_clause 0x1
	buffer_load_dword v1, off, s[0:3], 0 offset:24
	buffer_load_dword v2, off, s[0:3], 0 offset:40
	s_andn2_b32 s6, s6, exec_lo
	s_waitcnt vmcnt(0)
	v_cmp_ge_u32_e32 vcc_lo, v2, v1
	s_and_b32 s8, vcc_lo, exec_lo
	s_or_b32 s6, s6, s8
.LBB1_365:                              ;   in Loop: Header=BB1_214 Depth=2
	s_or_b32 exec_lo, exec_lo, s7
	s_andn2_b32 s4, s4, exec_lo
	s_and_b32 s6, s6, exec_lo
	s_or_b32 s4, s4, s6
	s_or_b32 exec_lo, exec_lo, s5
	s_and_saveexec_b32 s5, s4
	s_cbranch_execnz .LBB1_286
	s_branch .LBB1_287
.LBB1_366:                              ;   in Loop: Header=BB1_214 Depth=2
	v_cmp_gt_u32_e64 s4, v0, v1
	s_andn2_saveexec_b32 s5, s5
	s_cbranch_execz .LBB1_289
.LBB1_367:                              ;   in Loop: Header=BB1_214 Depth=2
	s_clause 0x1
	buffer_load_dword v1, off, s[0:3], 0 offset:36
	buffer_load_dword v2, off, s[0:3], 0 offset:52
	s_mov_b32 s7, exec_lo
                                        ; implicit-def: $sgpr6
	s_waitcnt vmcnt(0)
	v_cmpx_ne_u32_e64 v1, v2
	s_xor_b32 s7, exec_lo, s7
; %bb.368:                              ;   in Loop: Header=BB1_214 Depth=2
	v_cmp_gt_u32_e64 s6, v1, v2
; %bb.369:                              ;   in Loop: Header=BB1_214 Depth=2
	s_andn2_saveexec_b32 s7, s7
	s_cbranch_execz .LBB1_371
; %bb.370:                              ;   in Loop: Header=BB1_214 Depth=2
	s_clause 0x1
	buffer_load_dword v1, off, s[0:3], 0 offset:40
	buffer_load_dword v2, off, s[0:3], 0 offset:56
	s_andn2_b32 s6, s6, exec_lo
	s_waitcnt vmcnt(0)
	v_cmp_ge_u32_e32 vcc_lo, v1, v2
	s_and_b32 s8, vcc_lo, exec_lo
	s_or_b32 s6, s6, s8
.LBB1_371:                              ;   in Loop: Header=BB1_214 Depth=2
	s_or_b32 exec_lo, exec_lo, s7
	s_andn2_b32 s4, s4, exec_lo
	s_and_b32 s6, s6, exec_lo
	s_or_b32 s4, s4, s6
	s_or_b32 exec_lo, exec_lo, s5
	s_and_saveexec_b32 s5, s4
	s_cbranch_execnz .LBB1_290
	s_branch .LBB1_291
.LBB1_372:                              ;   in Loop: Header=BB1_214 Depth=2
	v_cmp_gt_u32_e64 s4, v0, v1
	s_andn2_saveexec_b32 s5, s5
	s_cbranch_execz .LBB1_293
.LBB1_373:                              ;   in Loop: Header=BB1_214 Depth=2
	s_clause 0x1
	buffer_load_dword v0, off, s[0:3], 0 offset:36
	buffer_load_dword v1, off, s[0:3], 0 offset:68
	s_mov_b32 s7, exec_lo
                                        ; implicit-def: $sgpr6
	s_waitcnt vmcnt(0)
	v_cmpx_ne_u32_e64 v0, v1
	s_xor_b32 s7, exec_lo, s7
; %bb.374:                              ;   in Loop: Header=BB1_214 Depth=2
	v_cmp_gt_u32_e64 s6, v0, v1
; %bb.375:                              ;   in Loop: Header=BB1_214 Depth=2
	s_andn2_saveexec_b32 s7, s7
	s_cbranch_execz .LBB1_377
; %bb.376:                              ;   in Loop: Header=BB1_214 Depth=2
	s_clause 0x1
	buffer_load_dword v0, off, s[0:3], 0 offset:40
	buffer_load_dword v1, off, s[0:3], 0 offset:72
	s_andn2_b32 s6, s6, exec_lo
	s_waitcnt vmcnt(0)
	v_cmp_ge_u32_e32 vcc_lo, v0, v1
	s_and_b32 s8, vcc_lo, exec_lo
	s_or_b32 s6, s6, s8
.LBB1_377:                              ;   in Loop: Header=BB1_214 Depth=2
	s_or_b32 exec_lo, exec_lo, s7
	s_andn2_b32 s4, s4, exec_lo
	s_and_b32 s6, s6, exec_lo
	s_or_b32 s4, s4, s6
	s_or_b32 exec_lo, exec_lo, s5
	s_and_saveexec_b32 s5, s4
	s_cbranch_execnz .LBB1_294
	s_branch .LBB1_295
.LBB1_378:                              ;   in Loop: Header=BB1_214 Depth=2
	v_cmp_gt_u32_e64 s4, v1, v0
	s_andn2_saveexec_b32 s5, s5
	s_cbranch_execz .LBB1_297
.LBB1_379:                              ;   in Loop: Header=BB1_214 Depth=2
	s_clause 0x1
	buffer_load_dword v0, off, s[0:3], 0 offset:20
	buffer_load_dword v2, off, s[0:3], 0 offset:52
	s_mov_b32 s7, exec_lo
                                        ; implicit-def: $sgpr6
	s_waitcnt vmcnt(0)
	v_cmpx_ne_u32_e64 v2, v0
	s_xor_b32 s7, exec_lo, s7
; %bb.380:                              ;   in Loop: Header=BB1_214 Depth=2
	v_cmp_gt_u32_e64 s6, v2, v0
; %bb.381:                              ;   in Loop: Header=BB1_214 Depth=2
	s_andn2_saveexec_b32 s7, s7
	s_cbranch_execz .LBB1_383
; %bb.382:                              ;   in Loop: Header=BB1_214 Depth=2
	s_clause 0x1
	buffer_load_dword v0, off, s[0:3], 0 offset:24
	buffer_load_dword v2, off, s[0:3], 0 offset:56
	s_andn2_b32 s6, s6, exec_lo
	s_waitcnt vmcnt(0)
	v_cmp_ge_u32_e32 vcc_lo, v2, v0
	s_and_b32 s8, vcc_lo, exec_lo
	s_or_b32 s6, s6, s8
.LBB1_383:                              ;   in Loop: Header=BB1_214 Depth=2
	s_or_b32 exec_lo, exec_lo, s7
	s_andn2_b32 s4, s4, exec_lo
	s_and_b32 s6, s6, exec_lo
	s_or_b32 s4, s4, s6
	s_or_b32 exec_lo, exec_lo, s5
	s_and_saveexec_b32 s5, s4
	s_cbranch_execnz .LBB1_298
	s_branch .LBB1_299
.LBB1_384:                              ;   in Loop: Header=BB1_214 Depth=2
	v_cmp_gt_u32_e64 s4, v1, v0
	s_andn2_saveexec_b32 s5, s5
	s_cbranch_execz .LBB1_301
.LBB1_385:                              ;   in Loop: Header=BB1_214 Depth=2
	s_clause 0x1
	buffer_load_dword v0, off, s[0:3], 0 offset:36
	buffer_load_dword v2, off, s[0:3], 0 offset:52
	s_mov_b32 s7, exec_lo
                                        ; implicit-def: $sgpr6
	s_waitcnt vmcnt(0)
	v_cmpx_ne_u32_e64 v2, v0
	s_xor_b32 s7, exec_lo, s7
; %bb.386:                              ;   in Loop: Header=BB1_214 Depth=2
	v_cmp_gt_u32_e64 s6, v2, v0
; %bb.387:                              ;   in Loop: Header=BB1_214 Depth=2
	s_andn2_saveexec_b32 s7, s7
	s_cbranch_execz .LBB1_389
; %bb.388:                              ;   in Loop: Header=BB1_214 Depth=2
	s_clause 0x1
	buffer_load_dword v0, off, s[0:3], 0 offset:40
	buffer_load_dword v2, off, s[0:3], 0 offset:56
	s_andn2_b32 s6, s6, exec_lo
	s_waitcnt vmcnt(0)
	v_cmp_ge_u32_e32 vcc_lo, v2, v0
	s_and_b32 s8, vcc_lo, exec_lo
	s_or_b32 s6, s6, s8
.LBB1_389:                              ;   in Loop: Header=BB1_214 Depth=2
	s_or_b32 exec_lo, exec_lo, s7
	s_andn2_b32 s4, s4, exec_lo
	s_and_b32 s6, s6, exec_lo
	s_or_b32 s4, s4, s6
	s_or_b32 exec_lo, exec_lo, s5
	s_and_saveexec_b32 s5, s4
	s_cbranch_execnz .LBB1_302
	s_branch .LBB1_303
.LBB1_390:                              ;   in Loop: Header=BB1_214 Depth=2
	v_cmp_gt_u32_e64 s4, v1, v0
	s_andn2_saveexec_b32 s5, s5
	s_cbranch_execz .LBB1_305
.LBB1_391:                              ;   in Loop: Header=BB1_214 Depth=2
	s_clause 0x1
	buffer_load_dword v1, off, s[0:3], 0 offset:52
	buffer_load_dword v2, off, s[0:3], 0 offset:68
	s_mov_b32 s7, exec_lo
                                        ; implicit-def: $sgpr6
	s_waitcnt vmcnt(0)
	v_cmpx_ne_u32_e64 v1, v2
	s_xor_b32 s7, exec_lo, s7
; %bb.392:                              ;   in Loop: Header=BB1_214 Depth=2
	v_cmp_gt_u32_e64 s6, v1, v2
; %bb.393:                              ;   in Loop: Header=BB1_214 Depth=2
	s_andn2_saveexec_b32 s7, s7
	s_cbranch_execz .LBB1_395
; %bb.394:                              ;   in Loop: Header=BB1_214 Depth=2
	s_clause 0x1
	buffer_load_dword v1, off, s[0:3], 0 offset:56
	buffer_load_dword v2, off, s[0:3], 0 offset:72
	s_andn2_b32 s6, s6, exec_lo
	s_waitcnt vmcnt(0)
	v_cmp_ge_u32_e32 vcc_lo, v1, v2
	s_and_b32 s8, vcc_lo, exec_lo
	s_or_b32 s6, s6, s8
.LBB1_395:                              ;   in Loop: Header=BB1_214 Depth=2
	s_or_b32 exec_lo, exec_lo, s7
	s_andn2_b32 s4, s4, exec_lo
	s_and_b32 s6, s6, exec_lo
	s_or_b32 s4, s4, s6
	s_or_b32 exec_lo, exec_lo, s5
	s_and_saveexec_b32 s5, s4
	s_cbranch_execnz .LBB1_306
	s_branch .LBB1_307
.LBB1_396:                              ;   in Loop: Header=BB1_214 Depth=2
	v_cmp_gt_u32_e64 s4, v0, v1
	s_andn2_saveexec_b32 s5, s5
	s_cbranch_execz .LBB1_309
.LBB1_397:                              ;   in Loop: Header=BB1_214 Depth=2
	s_clause 0x1
	buffer_load_dword v1, off, s[0:3], 0 offset:20
	buffer_load_dword v2, off, s[0:3], 0 offset:68
	s_mov_b32 s7, exec_lo
                                        ; implicit-def: $sgpr6
	s_waitcnt vmcnt(0)
	v_cmpx_ne_u32_e64 v2, v1
	s_xor_b32 s7, exec_lo, s7
; %bb.398:                              ;   in Loop: Header=BB1_214 Depth=2
	v_cmp_gt_u32_e64 s6, v2, v1
; %bb.399:                              ;   in Loop: Header=BB1_214 Depth=2
	s_andn2_saveexec_b32 s7, s7
	s_cbranch_execz .LBB1_401
; %bb.400:                              ;   in Loop: Header=BB1_214 Depth=2
	s_clause 0x1
	buffer_load_dword v1, off, s[0:3], 0 offset:24
	buffer_load_dword v2, off, s[0:3], 0 offset:72
	s_andn2_b32 s6, s6, exec_lo
	s_waitcnt vmcnt(0)
	v_cmp_ge_u32_e32 vcc_lo, v2, v1
	s_and_b32 s8, vcc_lo, exec_lo
	s_or_b32 s6, s6, s8
.LBB1_401:                              ;   in Loop: Header=BB1_214 Depth=2
	s_or_b32 exec_lo, exec_lo, s7
	s_andn2_b32 s4, s4, exec_lo
	s_and_b32 s6, s6, exec_lo
	s_or_b32 s4, s4, s6
	s_or_b32 exec_lo, exec_lo, s5
	s_and_saveexec_b32 s5, s4
	s_cbranch_execnz .LBB1_310
	s_branch .LBB1_311
.LBB1_402:                              ;   in Loop: Header=BB1_214 Depth=2
	v_cmp_gt_u32_e64 s4, v0, v1
	s_andn2_saveexec_b32 s5, s5
	s_cbranch_execz .LBB1_313
.LBB1_403:                              ;   in Loop: Header=BB1_214 Depth=2
	s_clause 0x1
	buffer_load_dword v1, off, s[0:3], 0 offset:36
	buffer_load_dword v2, off, s[0:3], 0 offset:68
	s_mov_b32 s7, exec_lo
                                        ; implicit-def: $sgpr6
	s_waitcnt vmcnt(0)
	v_cmpx_ne_u32_e64 v2, v1
	s_xor_b32 s7, exec_lo, s7
; %bb.404:                              ;   in Loop: Header=BB1_214 Depth=2
	v_cmp_gt_u32_e64 s6, v2, v1
; %bb.405:                              ;   in Loop: Header=BB1_214 Depth=2
	s_andn2_saveexec_b32 s7, s7
	s_cbranch_execz .LBB1_407
; %bb.406:                              ;   in Loop: Header=BB1_214 Depth=2
	s_clause 0x1
	buffer_load_dword v1, off, s[0:3], 0 offset:40
	buffer_load_dword v2, off, s[0:3], 0 offset:72
	s_andn2_b32 s6, s6, exec_lo
	s_waitcnt vmcnt(0)
	v_cmp_ge_u32_e32 vcc_lo, v2, v1
	s_and_b32 s8, vcc_lo, exec_lo
	s_or_b32 s6, s6, s8
.LBB1_407:                              ;   in Loop: Header=BB1_214 Depth=2
	s_or_b32 exec_lo, exec_lo, s7
	s_andn2_b32 s4, s4, exec_lo
	s_and_b32 s6, s6, exec_lo
	s_or_b32 s4, s4, s6
	s_or_b32 exec_lo, exec_lo, s5
	s_and_saveexec_b32 s5, s4
	s_cbranch_execnz .LBB1_314
	s_branch .LBB1_315
.LBB1_408:                              ;   in Loop: Header=BB1_214 Depth=2
	v_cmp_gt_u32_e64 s4, v0, v1
	s_andn2_saveexec_b32 s5, s5
	s_cbranch_execz .LBB1_317
.LBB1_409:                              ;   in Loop: Header=BB1_214 Depth=2
	s_clause 0x1
	buffer_load_dword v0, off, s[0:3], 0 offset:52
	buffer_load_dword v1, off, s[0:3], 0 offset:68
	s_mov_b32 s7, exec_lo
                                        ; implicit-def: $sgpr6
	s_waitcnt vmcnt(0)
	v_cmpx_ne_u32_e64 v1, v0
	s_xor_b32 s7, exec_lo, s7
; %bb.410:                              ;   in Loop: Header=BB1_214 Depth=2
	v_cmp_gt_u32_e64 s6, v1, v0
; %bb.411:                              ;   in Loop: Header=BB1_214 Depth=2
	s_andn2_saveexec_b32 s7, s7
	s_cbranch_execz .LBB1_413
; %bb.412:                              ;   in Loop: Header=BB1_214 Depth=2
	s_clause 0x1
	buffer_load_dword v0, off, s[0:3], 0 offset:56
	buffer_load_dword v1, off, s[0:3], 0 offset:72
	s_andn2_b32 s6, s6, exec_lo
	s_waitcnt vmcnt(0)
	v_cmp_ge_u32_e32 vcc_lo, v1, v0
	s_and_b32 s8, vcc_lo, exec_lo
	s_or_b32 s6, s6, s8
.LBB1_413:                              ;   in Loop: Header=BB1_214 Depth=2
	s_or_b32 exec_lo, exec_lo, s7
	s_andn2_b32 s4, s4, exec_lo
	s_and_b32 s6, s6, exec_lo
	s_or_b32 s4, s4, s6
	s_or_b32 exec_lo, exec_lo, s5
	s_and_saveexec_b32 s5, s4
	s_cbranch_execnz .LBB1_318
	s_branch .LBB1_319
.LBB1_414:                              ;   in Loop: Header=BB1_214 Depth=2
	global_load_dwordx2 v[0:1], v[0:1], off
	s_and_saveexec_b32 s10, s4
	s_cbranch_execz .LBB1_418
; %bb.415:                              ;   in Loop: Header=BB1_214 Depth=2
	s_clause 0x2
	global_load_dwordx2 v[2:3], v44, s[6:7] offset:40
	global_load_dwordx2 v[9:10], v44, s[6:7] offset:24 glc dlc
	global_load_dwordx2 v[5:6], v44, s[6:7]
	s_waitcnt vmcnt(2)
	v_readfirstlane_b32 s12, v2
	v_readfirstlane_b32 s13, v3
	s_add_u32 s11, s12, 1
	s_addc_u32 s14, s13, 0
	s_add_u32 s4, s11, s8
	s_addc_u32 s5, s14, s9
	s_cmp_eq_u64 s[4:5], 0
	s_cselect_b32 s5, s14, s5
	s_cselect_b32 s4, s11, s4
	v_mov_b32_e32 v8, s5
	s_and_b64 s[8:9], s[4:5], s[12:13]
	v_mov_b32_e32 v7, s4
	s_mul_i32 s9, s9, 24
	s_mul_hi_u32 s11, s8, 24
	s_mul_i32 s8, s8, 24
	s_add_i32 s11, s11, s9
	s_waitcnt vmcnt(0)
	v_add_co_u32 v2, vcc_lo, v5, s8
	v_add_co_ci_u32_e64 v3, null, s11, v6, vcc_lo
	global_store_dwordx2 v[2:3], v[9:10], off
	s_waitcnt_vscnt null, 0x0
	global_atomic_cmpswap_x2 v[7:8], v44, v[7:10], s[6:7] offset:24 glc
	s_waitcnt vmcnt(0)
	v_cmp_ne_u64_e32 vcc_lo, v[7:8], v[9:10]
	s_and_b32 exec_lo, exec_lo, vcc_lo
	s_cbranch_execz .LBB1_418
; %bb.416:                              ;   in Loop: Header=BB1_214 Depth=2
	s_mov_b32 s8, 0
.LBB1_417:                              ;   Parent Loop BB1_13 Depth=1
                                        ;     Parent Loop BB1_214 Depth=2
                                        ; =>    This Inner Loop Header: Depth=3
	v_mov_b32_e32 v5, s4
	v_mov_b32_e32 v6, s5
	s_sleep 1
	global_store_dwordx2 v[2:3], v[7:8], off
	s_waitcnt_vscnt null, 0x0
	global_atomic_cmpswap_x2 v[5:6], v44, v[5:8], s[6:7] offset:24 glc
	s_waitcnt vmcnt(0)
	v_cmp_eq_u64_e32 vcc_lo, v[5:6], v[7:8]
	v_mov_b32_e32 v8, v6
	v_mov_b32_e32 v7, v5
	s_or_b32 s8, vcc_lo, s8
	s_andn2_b32 exec_lo, exec_lo, s8
	s_cbranch_execnz .LBB1_417
.LBB1_418:                              ;   in Loop: Header=BB1_214 Depth=2
	s_or_b32 exec_lo, exec_lo, s10
	s_and_b32 vcc_lo, exec_lo, s60
	s_cbranch_vccz .LBB1_497
; %bb.419:                              ;   in Loop: Header=BB1_214 Depth=2
	s_waitcnt vmcnt(0)
	v_and_b32_e32 v5, -3, v0
	v_mov_b32_e32 v6, v1
	s_mov_b64 s[10:11], 53
	s_getpc_b64 s[8:9]
	s_add_u32 s8, s8, .str.4@rel32@lo+4
	s_addc_u32 s9, s9, .str.4@rel32@hi+12
	s_branch .LBB1_421
.LBB1_420:                              ;   in Loop: Header=BB1_421 Depth=3
	s_or_b32 exec_lo, exec_lo, s16
	s_sub_u32 s10, s10, s12
	s_subb_u32 s11, s11, s13
	s_add_u32 s8, s8, s12
	s_addc_u32 s9, s9, s13
	s_cmp_lg_u64 s[10:11], 0
	s_cbranch_scc0 .LBB1_496
.LBB1_421:                              ;   Parent Loop BB1_13 Depth=1
                                        ;     Parent Loop BB1_214 Depth=2
                                        ; =>    This Loop Header: Depth=3
                                        ;         Child Loop BB1_424 Depth 4
                                        ;         Child Loop BB1_431 Depth 4
	;; [unrolled: 1-line block ×11, first 2 shown]
	v_cmp_lt_u64_e64 s4, s[10:11], 56
	v_cmp_gt_u64_e64 s14, s[10:11], 7
	s_and_b32 s4, s4, exec_lo
	s_cselect_b32 s13, s11, 0
	s_cselect_b32 s12, s10, 56
	s_add_u32 s4, s8, 8
	s_addc_u32 s5, s9, 0
	s_and_b32 vcc_lo, exec_lo, s14
	s_cbranch_vccnz .LBB1_426
; %bb.422:                              ;   in Loop: Header=BB1_421 Depth=3
	s_waitcnt vmcnt(0)
	v_mov_b32_e32 v7, 0
	v_mov_b32_e32 v8, 0
	s_cmp_eq_u64 s[10:11], 0
	s_cbranch_scc1 .LBB1_425
; %bb.423:                              ;   in Loop: Header=BB1_421 Depth=3
	s_lshl_b64 s[4:5], s[12:13], 3
	s_mov_b64 s[14:15], 0
	s_mov_b64 s[16:17], s[8:9]
.LBB1_424:                              ;   Parent Loop BB1_13 Depth=1
                                        ;     Parent Loop BB1_214 Depth=2
                                        ;       Parent Loop BB1_421 Depth=3
                                        ; =>      This Inner Loop Header: Depth=4
	global_load_ubyte v2, v44, s[16:17]
	s_waitcnt vmcnt(0)
	v_and_b32_e32 v43, 0xffff, v2
	v_lshlrev_b64 v[2:3], s14, v[43:44]
	s_add_u32 s14, s14, 8
	s_addc_u32 s15, s15, 0
	s_add_u32 s16, s16, 1
	s_addc_u32 s17, s17, 0
	s_cmp_lg_u32 s4, s14
	v_or_b32_e32 v7, v2, v7
	v_or_b32_e32 v8, v3, v8
	s_cbranch_scc1 .LBB1_424
.LBB1_425:                              ;   in Loop: Header=BB1_421 Depth=3
	s_mov_b64 s[4:5], s[8:9]
	s_mov_b32 s22, 0
	s_cbranch_execz .LBB1_427
	s_branch .LBB1_428
.LBB1_426:                              ;   in Loop: Header=BB1_421 Depth=3
	s_mov_b32 s22, 0
.LBB1_427:                              ;   in Loop: Header=BB1_421 Depth=3
	global_load_dwordx2 v[7:8], v44, s[8:9]
	s_add_i32 s22, s12, -8
.LBB1_428:                              ;   in Loop: Header=BB1_421 Depth=3
	s_add_u32 s14, s4, 8
	s_addc_u32 s15, s5, 0
	s_cmp_gt_u32 s22, 7
	s_cbranch_scc1 .LBB1_433
; %bb.429:                              ;   in Loop: Header=BB1_421 Depth=3
	v_mov_b32_e32 v9, 0
	v_mov_b32_e32 v10, 0
	s_cmp_eq_u32 s22, 0
	s_cbranch_scc1 .LBB1_432
; %bb.430:                              ;   in Loop: Header=BB1_421 Depth=3
	s_mov_b64 s[14:15], 0
	s_mov_b64 s[16:17], 0
.LBB1_431:                              ;   Parent Loop BB1_13 Depth=1
                                        ;     Parent Loop BB1_214 Depth=2
                                        ;       Parent Loop BB1_421 Depth=3
                                        ; =>      This Inner Loop Header: Depth=4
	s_add_u32 s24, s4, s16
	s_addc_u32 s25, s5, s17
	s_add_u32 s16, s16, 1
	global_load_ubyte v2, v44, s[24:25]
	s_addc_u32 s17, s17, 0
	s_waitcnt vmcnt(0)
	v_and_b32_e32 v43, 0xffff, v2
	v_lshlrev_b64 v[2:3], s14, v[43:44]
	s_add_u32 s14, s14, 8
	s_addc_u32 s15, s15, 0
	s_cmp_lg_u32 s22, s16
	v_or_b32_e32 v9, v2, v9
	v_or_b32_e32 v10, v3, v10
	s_cbranch_scc1 .LBB1_431
.LBB1_432:                              ;   in Loop: Header=BB1_421 Depth=3
	s_mov_b64 s[14:15], s[4:5]
	s_mov_b32 s23, 0
	s_cbranch_execz .LBB1_434
	s_branch .LBB1_435
.LBB1_433:                              ;   in Loop: Header=BB1_421 Depth=3
                                        ; implicit-def: $vgpr9_vgpr10
	s_mov_b32 s23, 0
.LBB1_434:                              ;   in Loop: Header=BB1_421 Depth=3
	global_load_dwordx2 v[9:10], v44, s[4:5]
	s_add_i32 s23, s22, -8
.LBB1_435:                              ;   in Loop: Header=BB1_421 Depth=3
	s_add_u32 s4, s14, 8
	s_addc_u32 s5, s15, 0
	s_cmp_gt_u32 s23, 7
	s_cbranch_scc1 .LBB1_440
; %bb.436:                              ;   in Loop: Header=BB1_421 Depth=3
	v_mov_b32_e32 v11, 0
	v_mov_b32_e32 v12, 0
	s_cmp_eq_u32 s23, 0
	s_cbranch_scc1 .LBB1_439
; %bb.437:                              ;   in Loop: Header=BB1_421 Depth=3
	s_mov_b64 s[4:5], 0
	s_mov_b64 s[16:17], 0
.LBB1_438:                              ;   Parent Loop BB1_13 Depth=1
                                        ;     Parent Loop BB1_214 Depth=2
                                        ;       Parent Loop BB1_421 Depth=3
                                        ; =>      This Inner Loop Header: Depth=4
	s_add_u32 s24, s14, s16
	s_addc_u32 s25, s15, s17
	s_add_u32 s16, s16, 1
	global_load_ubyte v2, v44, s[24:25]
	s_addc_u32 s17, s17, 0
	s_waitcnt vmcnt(0)
	v_and_b32_e32 v43, 0xffff, v2
	v_lshlrev_b64 v[2:3], s4, v[43:44]
	s_add_u32 s4, s4, 8
	s_addc_u32 s5, s5, 0
	s_cmp_lg_u32 s23, s16
	v_or_b32_e32 v11, v2, v11
	v_or_b32_e32 v12, v3, v12
	s_cbranch_scc1 .LBB1_438
.LBB1_439:                              ;   in Loop: Header=BB1_421 Depth=3
	s_mov_b64 s[4:5], s[14:15]
	s_mov_b32 s22, 0
	s_cbranch_execz .LBB1_441
	s_branch .LBB1_442
.LBB1_440:                              ;   in Loop: Header=BB1_421 Depth=3
	s_mov_b32 s22, 0
.LBB1_441:                              ;   in Loop: Header=BB1_421 Depth=3
	global_load_dwordx2 v[11:12], v44, s[14:15]
	s_add_i32 s22, s23, -8
.LBB1_442:                              ;   in Loop: Header=BB1_421 Depth=3
	s_add_u32 s14, s4, 8
	s_addc_u32 s15, s5, 0
	s_cmp_gt_u32 s22, 7
	s_cbranch_scc1 .LBB1_447
; %bb.443:                              ;   in Loop: Header=BB1_421 Depth=3
	v_mov_b32_e32 v13, 0
	v_mov_b32_e32 v14, 0
	s_cmp_eq_u32 s22, 0
	s_cbranch_scc1 .LBB1_446
; %bb.444:                              ;   in Loop: Header=BB1_421 Depth=3
	s_mov_b64 s[14:15], 0
	s_mov_b64 s[16:17], 0
.LBB1_445:                              ;   Parent Loop BB1_13 Depth=1
                                        ;     Parent Loop BB1_214 Depth=2
                                        ;       Parent Loop BB1_421 Depth=3
                                        ; =>      This Inner Loop Header: Depth=4
	s_add_u32 s24, s4, s16
	s_addc_u32 s25, s5, s17
	s_add_u32 s16, s16, 1
	global_load_ubyte v2, v44, s[24:25]
	s_addc_u32 s17, s17, 0
	s_waitcnt vmcnt(0)
	v_and_b32_e32 v43, 0xffff, v2
	v_lshlrev_b64 v[2:3], s14, v[43:44]
	s_add_u32 s14, s14, 8
	s_addc_u32 s15, s15, 0
	s_cmp_lg_u32 s22, s16
	v_or_b32_e32 v13, v2, v13
	v_or_b32_e32 v14, v3, v14
	s_cbranch_scc1 .LBB1_445
.LBB1_446:                              ;   in Loop: Header=BB1_421 Depth=3
	s_mov_b64 s[14:15], s[4:5]
	s_mov_b32 s23, 0
	s_cbranch_execz .LBB1_448
	s_branch .LBB1_449
.LBB1_447:                              ;   in Loop: Header=BB1_421 Depth=3
                                        ; implicit-def: $vgpr13_vgpr14
	s_mov_b32 s23, 0
.LBB1_448:                              ;   in Loop: Header=BB1_421 Depth=3
	global_load_dwordx2 v[13:14], v44, s[4:5]
	s_add_i32 s23, s22, -8
.LBB1_449:                              ;   in Loop: Header=BB1_421 Depth=3
	s_add_u32 s4, s14, 8
	s_addc_u32 s5, s15, 0
	s_cmp_gt_u32 s23, 7
	s_cbranch_scc1 .LBB1_454
; %bb.450:                              ;   in Loop: Header=BB1_421 Depth=3
	v_mov_b32_e32 v15, 0
	v_mov_b32_e32 v16, 0
	s_cmp_eq_u32 s23, 0
	s_cbranch_scc1 .LBB1_453
; %bb.451:                              ;   in Loop: Header=BB1_421 Depth=3
	s_mov_b64 s[4:5], 0
	s_mov_b64 s[16:17], 0
.LBB1_452:                              ;   Parent Loop BB1_13 Depth=1
                                        ;     Parent Loop BB1_214 Depth=2
                                        ;       Parent Loop BB1_421 Depth=3
                                        ; =>      This Inner Loop Header: Depth=4
	s_add_u32 s24, s14, s16
	s_addc_u32 s25, s15, s17
	s_add_u32 s16, s16, 1
	global_load_ubyte v2, v44, s[24:25]
	s_addc_u32 s17, s17, 0
	s_waitcnt vmcnt(0)
	v_and_b32_e32 v43, 0xffff, v2
	v_lshlrev_b64 v[2:3], s4, v[43:44]
	s_add_u32 s4, s4, 8
	s_addc_u32 s5, s5, 0
	s_cmp_lg_u32 s23, s16
	v_or_b32_e32 v15, v2, v15
	v_or_b32_e32 v16, v3, v16
	s_cbranch_scc1 .LBB1_452
.LBB1_453:                              ;   in Loop: Header=BB1_421 Depth=3
	s_mov_b64 s[4:5], s[14:15]
	s_mov_b32 s22, 0
	s_cbranch_execz .LBB1_455
	s_branch .LBB1_456
.LBB1_454:                              ;   in Loop: Header=BB1_421 Depth=3
	s_mov_b32 s22, 0
.LBB1_455:                              ;   in Loop: Header=BB1_421 Depth=3
	global_load_dwordx2 v[15:16], v44, s[14:15]
	s_add_i32 s22, s23, -8
.LBB1_456:                              ;   in Loop: Header=BB1_421 Depth=3
	s_add_u32 s14, s4, 8
	s_addc_u32 s15, s5, 0
	s_cmp_gt_u32 s22, 7
	s_cbranch_scc1 .LBB1_461
; %bb.457:                              ;   in Loop: Header=BB1_421 Depth=3
	v_mov_b32_e32 v17, 0
	v_mov_b32_e32 v18, 0
	s_cmp_eq_u32 s22, 0
	s_cbranch_scc1 .LBB1_460
; %bb.458:                              ;   in Loop: Header=BB1_421 Depth=3
	s_mov_b64 s[14:15], 0
	s_mov_b64 s[16:17], 0
.LBB1_459:                              ;   Parent Loop BB1_13 Depth=1
                                        ;     Parent Loop BB1_214 Depth=2
                                        ;       Parent Loop BB1_421 Depth=3
                                        ; =>      This Inner Loop Header: Depth=4
	s_add_u32 s24, s4, s16
	s_addc_u32 s25, s5, s17
	s_add_u32 s16, s16, 1
	global_load_ubyte v2, v44, s[24:25]
	s_addc_u32 s17, s17, 0
	s_waitcnt vmcnt(0)
	v_and_b32_e32 v43, 0xffff, v2
	v_lshlrev_b64 v[2:3], s14, v[43:44]
	s_add_u32 s14, s14, 8
	s_addc_u32 s15, s15, 0
	s_cmp_lg_u32 s22, s16
	v_or_b32_e32 v17, v2, v17
	v_or_b32_e32 v18, v3, v18
	s_cbranch_scc1 .LBB1_459
.LBB1_460:                              ;   in Loop: Header=BB1_421 Depth=3
	s_mov_b64 s[14:15], s[4:5]
	s_mov_b32 s23, 0
	s_cbranch_execz .LBB1_462
	s_branch .LBB1_463
.LBB1_461:                              ;   in Loop: Header=BB1_421 Depth=3
                                        ; implicit-def: $vgpr17_vgpr18
	s_mov_b32 s23, 0
.LBB1_462:                              ;   in Loop: Header=BB1_421 Depth=3
	global_load_dwordx2 v[17:18], v44, s[4:5]
	s_add_i32 s23, s22, -8
.LBB1_463:                              ;   in Loop: Header=BB1_421 Depth=3
	s_cmp_gt_u32 s23, 7
	s_cbranch_scc1 .LBB1_468
; %bb.464:                              ;   in Loop: Header=BB1_421 Depth=3
	v_mov_b32_e32 v19, 0
	v_mov_b32_e32 v20, 0
	s_cmp_eq_u32 s23, 0
	s_cbranch_scc1 .LBB1_467
; %bb.465:                              ;   in Loop: Header=BB1_421 Depth=3
	s_mov_b64 s[4:5], 0
	s_mov_b64 s[16:17], s[14:15]
.LBB1_466:                              ;   Parent Loop BB1_13 Depth=1
                                        ;     Parent Loop BB1_214 Depth=2
                                        ;       Parent Loop BB1_421 Depth=3
                                        ; =>      This Inner Loop Header: Depth=4
	global_load_ubyte v2, v44, s[16:17]
	s_add_i32 s23, s23, -1
	s_waitcnt vmcnt(0)
	v_and_b32_e32 v43, 0xffff, v2
	v_lshlrev_b64 v[2:3], s4, v[43:44]
	s_add_u32 s4, s4, 8
	s_addc_u32 s5, s5, 0
	s_add_u32 s16, s16, 1
	s_addc_u32 s17, s17, 0
	s_cmp_lg_u32 s23, 0
	v_or_b32_e32 v19, v2, v19
	v_or_b32_e32 v20, v3, v20
	s_cbranch_scc1 .LBB1_466
.LBB1_467:                              ;   in Loop: Header=BB1_421 Depth=3
	s_cbranch_execz .LBB1_469
	s_branch .LBB1_470
.LBB1_468:                              ;   in Loop: Header=BB1_421 Depth=3
.LBB1_469:                              ;   in Loop: Header=BB1_421 Depth=3
	global_load_dwordx2 v[19:20], v44, s[14:15]
.LBB1_470:                              ;   in Loop: Header=BB1_421 Depth=3
	v_readfirstlane_b32 s4, v83
	v_mov_b32_e32 v2, 0
	v_mov_b32_e32 v3, 0
	v_cmp_eq_u32_e64 s4, s4, v83
	s_and_saveexec_b32 s5, s4
	s_cbranch_execz .LBB1_476
; %bb.471:                              ;   in Loop: Header=BB1_421 Depth=3
	global_load_dwordx2 v[23:24], v44, s[6:7] offset:24 glc dlc
	s_waitcnt vmcnt(0)
	buffer_gl1_inv
	buffer_gl0_inv
	s_clause 0x1
	global_load_dwordx2 v[2:3], v44, s[6:7] offset:40
	global_load_dwordx2 v[21:22], v44, s[6:7]
	s_mov_b32 s14, exec_lo
	s_waitcnt vmcnt(1)
	v_and_b32_e32 v3, v3, v24
	v_and_b32_e32 v2, v2, v23
	v_mul_lo_u32 v3, v3, 24
	v_mul_hi_u32 v31, v2, 24
	v_mul_lo_u32 v2, v2, 24
	v_add_nc_u32_e32 v3, v31, v3
	s_waitcnt vmcnt(0)
	v_add_co_u32 v2, vcc_lo, v21, v2
	v_add_co_ci_u32_e64 v3, null, v22, v3, vcc_lo
	global_load_dwordx2 v[21:22], v[2:3], off glc dlc
	s_waitcnt vmcnt(0)
	global_atomic_cmpswap_x2 v[2:3], v44, v[21:24], s[6:7] offset:24 glc
	s_waitcnt vmcnt(0)
	buffer_gl1_inv
	buffer_gl0_inv
	v_cmpx_ne_u64_e64 v[2:3], v[23:24]
	s_cbranch_execz .LBB1_475
; %bb.472:                              ;   in Loop: Header=BB1_421 Depth=3
	s_mov_b32 s15, 0
	.p2align	6
.LBB1_473:                              ;   Parent Loop BB1_13 Depth=1
                                        ;     Parent Loop BB1_214 Depth=2
                                        ;       Parent Loop BB1_421 Depth=3
                                        ; =>      This Inner Loop Header: Depth=4
	s_sleep 1
	s_clause 0x1
	global_load_dwordx2 v[21:22], v44, s[6:7] offset:40
	global_load_dwordx2 v[31:32], v44, s[6:7]
	v_mov_b32_e32 v24, v3
	v_mov_b32_e32 v23, v2
	s_waitcnt vmcnt(1)
	v_and_b32_e32 v2, v21, v23
	v_and_b32_e32 v21, v22, v24
	s_waitcnt vmcnt(0)
	v_mad_u64_u32 v[2:3], null, v2, 24, v[31:32]
	v_mad_u64_u32 v[21:22], null, v21, 24, v[3:4]
	v_mov_b32_e32 v3, v21
	global_load_dwordx2 v[21:22], v[2:3], off glc dlc
	s_waitcnt vmcnt(0)
	global_atomic_cmpswap_x2 v[2:3], v44, v[21:24], s[6:7] offset:24 glc
	s_waitcnt vmcnt(0)
	buffer_gl1_inv
	buffer_gl0_inv
	v_cmp_eq_u64_e32 vcc_lo, v[2:3], v[23:24]
	s_or_b32 s15, vcc_lo, s15
	s_andn2_b32 exec_lo, exec_lo, s15
	s_cbranch_execnz .LBB1_473
; %bb.474:                              ;   in Loop: Header=BB1_421 Depth=3
	s_or_b32 exec_lo, exec_lo, s15
.LBB1_475:                              ;   in Loop: Header=BB1_421 Depth=3
	s_or_b32 exec_lo, exec_lo, s14
.LBB1_476:                              ;   in Loop: Header=BB1_421 Depth=3
	s_or_b32 exec_lo, exec_lo, s5
	s_clause 0x1
	global_load_dwordx2 v[31:32], v44, s[6:7] offset:40
	global_load_dwordx4 v[21:24], v44, s[6:7]
	v_readfirstlane_b32 s15, v3
	v_readfirstlane_b32 s14, v2
	s_mov_b32 s5, exec_lo
	s_waitcnt vmcnt(1)
	v_readfirstlane_b32 s16, v31
	v_readfirstlane_b32 s17, v32
	s_and_b64 s[16:17], s[16:17], s[14:15]
	s_mul_i32 s22, s17, 24
	s_mul_hi_u32 s23, s16, 24
	s_mul_i32 s24, s16, 24
	s_add_i32 s23, s23, s22
	s_waitcnt vmcnt(0)
	v_add_co_u32 v2, vcc_lo, v21, s24
	v_add_co_ci_u32_e64 v3, null, s23, v22, vcc_lo
	s_and_saveexec_b32 s22, s4
	s_cbranch_execz .LBB1_478
; %bb.477:                              ;   in Loop: Header=BB1_421 Depth=3
	v_mov_b32_e32 v43, s5
	global_store_dwordx4 v[2:3], v[43:46], off offset:8
.LBB1_478:                              ;   in Loop: Header=BB1_421 Depth=3
	s_or_b32 exec_lo, exec_lo, s22
	v_cmp_gt_u64_e64 s5, s[10:11], 56
	s_lshl_b64 s[16:17], s[16:17], 12
	v_and_b32_e32 v5, 0xffffff1f, v5
	v_add_co_u32 v23, vcc_lo, v23, s16
	v_add_co_ci_u32_e64 v24, null, s17, v24, vcc_lo
	s_and_b32 s5, s5, exec_lo
	s_cselect_b32 s5, 0, 2
	s_lshl_b32 s22, s12, 2
	v_or_b32_e32 v5, s5, v5
	v_readfirstlane_b32 s16, v23
	v_readfirstlane_b32 s17, v24
	s_add_i32 s22, s22, 28
	v_and_or_b32 v5, 0x1e0, s22, v5
	global_store_dwordx4 v30, v[9:12], s[16:17] offset:16
	global_store_dwordx4 v30, v[13:16], s[16:17] offset:32
	global_store_dwordx4 v30, v[5:8], s[16:17]
	global_store_dwordx4 v30, v[17:20], s[16:17] offset:48
	s_and_saveexec_b32 s5, s4
	s_cbranch_execz .LBB1_486
; %bb.479:                              ;   in Loop: Header=BB1_421 Depth=3
	s_clause 0x1
	global_load_dwordx2 v[13:14], v44, s[6:7] offset:32 glc dlc
	global_load_dwordx2 v[5:6], v44, s[6:7] offset:40
	v_mov_b32_e32 v11, s14
	v_mov_b32_e32 v12, s15
	s_waitcnt vmcnt(0)
	v_readfirstlane_b32 s16, v5
	v_readfirstlane_b32 s17, v6
	s_and_b64 s[16:17], s[16:17], s[14:15]
	s_mul_i32 s17, s17, 24
	s_mul_hi_u32 s22, s16, 24
	s_mul_i32 s16, s16, 24
	s_add_i32 s22, s22, s17
	v_add_co_u32 v9, vcc_lo, v21, s16
	v_add_co_ci_u32_e64 v10, null, s22, v22, vcc_lo
	s_mov_b32 s16, exec_lo
	global_store_dwordx2 v[9:10], v[13:14], off
	s_waitcnt_vscnt null, 0x0
	global_atomic_cmpswap_x2 v[7:8], v44, v[11:14], s[6:7] offset:32 glc
	s_waitcnt vmcnt(0)
	v_cmpx_ne_u64_e64 v[7:8], v[13:14]
	s_cbranch_execz .LBB1_482
; %bb.480:                              ;   in Loop: Header=BB1_421 Depth=3
	s_mov_b32 s17, 0
.LBB1_481:                              ;   Parent Loop BB1_13 Depth=1
                                        ;     Parent Loop BB1_214 Depth=2
                                        ;       Parent Loop BB1_421 Depth=3
                                        ; =>      This Inner Loop Header: Depth=4
	v_mov_b32_e32 v5, s14
	v_mov_b32_e32 v6, s15
	s_sleep 1
	global_store_dwordx2 v[9:10], v[7:8], off
	s_waitcnt_vscnt null, 0x0
	global_atomic_cmpswap_x2 v[5:6], v44, v[5:8], s[6:7] offset:32 glc
	s_waitcnt vmcnt(0)
	v_cmp_eq_u64_e32 vcc_lo, v[5:6], v[7:8]
	v_mov_b32_e32 v8, v6
	v_mov_b32_e32 v7, v5
	s_or_b32 s17, vcc_lo, s17
	s_andn2_b32 exec_lo, exec_lo, s17
	s_cbranch_execnz .LBB1_481
.LBB1_482:                              ;   in Loop: Header=BB1_421 Depth=3
	s_or_b32 exec_lo, exec_lo, s16
	global_load_dwordx2 v[5:6], v44, s[6:7] offset:16
	s_mov_b32 s17, exec_lo
	s_mov_b32 s16, exec_lo
	v_mbcnt_lo_u32_b32 v7, s17, 0
	v_cmpx_eq_u32_e32 0, v7
	s_cbranch_execz .LBB1_484
; %bb.483:                              ;   in Loop: Header=BB1_421 Depth=3
	s_bcnt1_i32_b32 s17, s17
	v_mov_b32_e32 v43, s17
	s_waitcnt vmcnt(0)
	global_atomic_add_x2 v[5:6], v[43:44], off offset:8
.LBB1_484:                              ;   in Loop: Header=BB1_421 Depth=3
	s_or_b32 exec_lo, exec_lo, s16
	s_waitcnt vmcnt(0)
	global_load_dwordx2 v[7:8], v[5:6], off offset:16
	s_waitcnt vmcnt(0)
	v_cmp_eq_u64_e32 vcc_lo, 0, v[7:8]
	s_cbranch_vccnz .LBB1_486
; %bb.485:                              ;   in Loop: Header=BB1_421 Depth=3
	global_load_dword v43, v[5:6], off offset:24
	s_waitcnt vmcnt(0)
	v_readfirstlane_b32 s16, v43
	s_waitcnt_vscnt null, 0x0
	global_store_dwordx2 v[7:8], v[43:44], off
	s_and_b32 m0, s16, 0x7fffff
	s_sendmsg sendmsg(MSG_INTERRUPT)
.LBB1_486:                              ;   in Loop: Header=BB1_421 Depth=3
	s_or_b32 exec_lo, exec_lo, s5
	v_add_co_u32 v5, vcc_lo, v23, v30
	v_add_co_ci_u32_e64 v6, null, 0, v24, vcc_lo
	s_branch .LBB1_490
	.p2align	6
.LBB1_487:                              ;   in Loop: Header=BB1_490 Depth=4
	s_or_b32 exec_lo, exec_lo, s5
	v_readfirstlane_b32 s5, v7
	s_cmp_eq_u32 s5, 0
	s_cbranch_scc1 .LBB1_489
; %bb.488:                              ;   in Loop: Header=BB1_490 Depth=4
	s_sleep 1
	s_cbranch_execnz .LBB1_490
	s_branch .LBB1_492
	.p2align	6
.LBB1_489:                              ;   in Loop: Header=BB1_421 Depth=3
	s_branch .LBB1_492
.LBB1_490:                              ;   Parent Loop BB1_13 Depth=1
                                        ;     Parent Loop BB1_214 Depth=2
                                        ;       Parent Loop BB1_421 Depth=3
                                        ; =>      This Inner Loop Header: Depth=4
	v_mov_b32_e32 v7, 1
	s_and_saveexec_b32 s5, s4
	s_cbranch_execz .LBB1_487
; %bb.491:                              ;   in Loop: Header=BB1_490 Depth=4
	global_load_dword v7, v[2:3], off offset:20 glc dlc
	s_waitcnt vmcnt(0)
	buffer_gl1_inv
	buffer_gl0_inv
	v_and_b32_e32 v7, 1, v7
	s_branch .LBB1_487
.LBB1_492:                              ;   in Loop: Header=BB1_421 Depth=3
	global_load_dwordx4 v[5:8], v[5:6], off
	s_and_saveexec_b32 s16, s4
	s_cbranch_execz .LBB1_420
; %bb.493:                              ;   in Loop: Header=BB1_421 Depth=3
	s_clause 0x2
	global_load_dwordx2 v[2:3], v44, s[6:7] offset:40
	global_load_dwordx2 v[11:12], v44, s[6:7] offset:24 glc dlc
	global_load_dwordx2 v[7:8], v44, s[6:7]
	s_waitcnt vmcnt(2)
	v_readfirstlane_b32 s22, v2
	v_readfirstlane_b32 s23, v3
	s_add_u32 s17, s22, 1
	s_addc_u32 s24, s23, 0
	s_add_u32 s4, s17, s14
	s_addc_u32 s5, s24, s15
	s_cmp_eq_u64 s[4:5], 0
	s_cselect_b32 s5, s24, s5
	s_cselect_b32 s4, s17, s4
	v_mov_b32_e32 v10, s5
	s_and_b64 s[14:15], s[4:5], s[22:23]
	v_mov_b32_e32 v9, s4
	s_mul_i32 s15, s15, 24
	s_mul_hi_u32 s17, s14, 24
	s_mul_i32 s14, s14, 24
	s_add_i32 s17, s17, s15
	s_waitcnt vmcnt(0)
	v_add_co_u32 v2, vcc_lo, v7, s14
	v_add_co_ci_u32_e64 v3, null, s17, v8, vcc_lo
	global_store_dwordx2 v[2:3], v[11:12], off
	s_waitcnt_vscnt null, 0x0
	global_atomic_cmpswap_x2 v[9:10], v44, v[9:12], s[6:7] offset:24 glc
	s_waitcnt vmcnt(0)
	v_cmp_ne_u64_e32 vcc_lo, v[9:10], v[11:12]
	s_and_b32 exec_lo, exec_lo, vcc_lo
	s_cbranch_execz .LBB1_420
; %bb.494:                              ;   in Loop: Header=BB1_421 Depth=3
	s_mov_b32 s14, 0
.LBB1_495:                              ;   Parent Loop BB1_13 Depth=1
                                        ;     Parent Loop BB1_214 Depth=2
                                        ;       Parent Loop BB1_421 Depth=3
                                        ; =>      This Inner Loop Header: Depth=4
	v_mov_b32_e32 v7, s4
	v_mov_b32_e32 v8, s5
	s_sleep 1
	global_store_dwordx2 v[2:3], v[9:10], off
	s_waitcnt_vscnt null, 0x0
	global_atomic_cmpswap_x2 v[7:8], v44, v[7:10], s[6:7] offset:24 glc
	s_waitcnt vmcnt(0)
	v_cmp_eq_u64_e32 vcc_lo, v[7:8], v[9:10]
	v_mov_b32_e32 v10, v8
	v_mov_b32_e32 v9, v7
	s_or_b32 s14, vcc_lo, s14
	s_andn2_b32 exec_lo, exec_lo, s14
	s_cbranch_execnz .LBB1_495
	s_branch .LBB1_420
.LBB1_496:                              ;   in Loop: Header=BB1_214 Depth=2
	s_branch .LBB1_524
.LBB1_497:                              ;   in Loop: Header=BB1_214 Depth=2
	s_cbranch_execz .LBB1_524
; %bb.498:                              ;   in Loop: Header=BB1_214 Depth=2
	v_readfirstlane_b32 s4, v83
	v_mov_b32_e32 v2, 0
	v_mov_b32_e32 v3, 0
	v_cmp_eq_u32_e64 s4, s4, v83
	s_and_saveexec_b32 s5, s4
	s_cbranch_execz .LBB1_504
; %bb.499:                              ;   in Loop: Header=BB1_214 Depth=2
	global_load_dwordx2 v[7:8], v44, s[6:7] offset:24 glc dlc
	s_waitcnt vmcnt(0)
	buffer_gl1_inv
	buffer_gl0_inv
	s_clause 0x1
	global_load_dwordx2 v[2:3], v44, s[6:7] offset:40
	global_load_dwordx2 v[5:6], v44, s[6:7]
	s_mov_b32 s8, exec_lo
	s_waitcnt vmcnt(1)
	v_and_b32_e32 v3, v3, v8
	v_and_b32_e32 v2, v2, v7
	v_mul_lo_u32 v3, v3, 24
	v_mul_hi_u32 v9, v2, 24
	v_mul_lo_u32 v2, v2, 24
	v_add_nc_u32_e32 v3, v9, v3
	s_waitcnt vmcnt(0)
	v_add_co_u32 v2, vcc_lo, v5, v2
	v_add_co_ci_u32_e64 v3, null, v6, v3, vcc_lo
	global_load_dwordx2 v[5:6], v[2:3], off glc dlc
	s_waitcnt vmcnt(0)
	global_atomic_cmpswap_x2 v[2:3], v44, v[5:8], s[6:7] offset:24 glc
	s_waitcnt vmcnt(0)
	buffer_gl1_inv
	buffer_gl0_inv
	v_cmpx_ne_u64_e64 v[2:3], v[7:8]
	s_cbranch_execz .LBB1_503
; %bb.500:                              ;   in Loop: Header=BB1_214 Depth=2
	s_mov_b32 s9, 0
	.p2align	6
.LBB1_501:                              ;   Parent Loop BB1_13 Depth=1
                                        ;     Parent Loop BB1_214 Depth=2
                                        ; =>    This Inner Loop Header: Depth=3
	s_sleep 1
	s_clause 0x1
	global_load_dwordx2 v[5:6], v44, s[6:7] offset:40
	global_load_dwordx2 v[9:10], v44, s[6:7]
	v_mov_b32_e32 v8, v3
	v_mov_b32_e32 v7, v2
	s_waitcnt vmcnt(1)
	v_and_b32_e32 v2, v5, v7
	v_and_b32_e32 v5, v6, v8
	s_waitcnt vmcnt(0)
	v_mad_u64_u32 v[2:3], null, v2, 24, v[9:10]
	v_mad_u64_u32 v[5:6], null, v5, 24, v[3:4]
	v_mov_b32_e32 v3, v5
	global_load_dwordx2 v[5:6], v[2:3], off glc dlc
	s_waitcnt vmcnt(0)
	global_atomic_cmpswap_x2 v[2:3], v44, v[5:8], s[6:7] offset:24 glc
	s_waitcnt vmcnt(0)
	buffer_gl1_inv
	buffer_gl0_inv
	v_cmp_eq_u64_e32 vcc_lo, v[2:3], v[7:8]
	s_or_b32 s9, vcc_lo, s9
	s_andn2_b32 exec_lo, exec_lo, s9
	s_cbranch_execnz .LBB1_501
; %bb.502:                              ;   in Loop: Header=BB1_214 Depth=2
	s_or_b32 exec_lo, exec_lo, s9
.LBB1_503:                              ;   in Loop: Header=BB1_214 Depth=2
	s_or_b32 exec_lo, exec_lo, s8
.LBB1_504:                              ;   in Loop: Header=BB1_214 Depth=2
	s_or_b32 exec_lo, exec_lo, s5
	s_clause 0x1
	global_load_dwordx2 v[9:10], v44, s[6:7] offset:40
	global_load_dwordx4 v[5:8], v44, s[6:7]
	v_readfirstlane_b32 s9, v3
	v_readfirstlane_b32 s8, v2
	s_mov_b32 s5, exec_lo
	s_waitcnt vmcnt(1)
	v_readfirstlane_b32 s10, v9
	v_readfirstlane_b32 s11, v10
	s_and_b64 s[10:11], s[10:11], s[8:9]
	s_mul_i32 s12, s11, 24
	s_mul_hi_u32 s13, s10, 24
	s_mul_i32 s14, s10, 24
	s_add_i32 s13, s13, s12
	s_waitcnt vmcnt(0)
	v_add_co_u32 v9, vcc_lo, v5, s14
	v_add_co_ci_u32_e64 v10, null, s13, v6, vcc_lo
	s_and_saveexec_b32 s12, s4
	s_cbranch_execz .LBB1_506
; %bb.505:                              ;   in Loop: Header=BB1_214 Depth=2
	v_mov_b32_e32 v43, s5
	global_store_dwordx4 v[9:10], v[43:46], off offset:8
.LBB1_506:                              ;   in Loop: Header=BB1_214 Depth=2
	s_or_b32 exec_lo, exec_lo, s12
	s_lshl_b64 s[10:11], s[10:11], 12
	s_mov_b32 s41, s40
	v_add_co_u32 v7, vcc_lo, v7, s10
	v_add_co_ci_u32_e64 v8, null, s11, v8, vcc_lo
	s_mov_b32 s42, s40
	s_mov_b32 s43, s40
	v_and_or_b32 v0, 0xffffff1d, v0, 34
	v_mov_b32_e32 v2, v44
	v_mov_b32_e32 v3, v44
	v_readfirstlane_b32 s10, v7
	v_readfirstlane_b32 s11, v8
	v_mov_b32_e32 v11, s40
	v_mov_b32_e32 v12, s41
	;; [unrolled: 1-line block ×4, first 2 shown]
	global_store_dwordx4 v30, v[0:3], s[10:11]
	global_store_dwordx4 v30, v[11:14], s[10:11] offset:16
	global_store_dwordx4 v30, v[11:14], s[10:11] offset:32
	;; [unrolled: 1-line block ×3, first 2 shown]
	s_and_saveexec_b32 s5, s4
	s_cbranch_execz .LBB1_514
; %bb.507:                              ;   in Loop: Header=BB1_214 Depth=2
	s_clause 0x1
	global_load_dwordx2 v[13:14], v44, s[6:7] offset:32 glc dlc
	global_load_dwordx2 v[0:1], v44, s[6:7] offset:40
	v_mov_b32_e32 v11, s8
	v_mov_b32_e32 v12, s9
	s_waitcnt vmcnt(0)
	v_readfirstlane_b32 s10, v0
	v_readfirstlane_b32 s11, v1
	s_and_b64 s[10:11], s[10:11], s[8:9]
	s_mul_i32 s11, s11, 24
	s_mul_hi_u32 s12, s10, 24
	s_mul_i32 s10, s10, 24
	s_add_i32 s12, s12, s11
	v_add_co_u32 v5, vcc_lo, v5, s10
	v_add_co_ci_u32_e64 v6, null, s12, v6, vcc_lo
	s_mov_b32 s10, exec_lo
	global_store_dwordx2 v[5:6], v[13:14], off
	s_waitcnt_vscnt null, 0x0
	global_atomic_cmpswap_x2 v[2:3], v44, v[11:14], s[6:7] offset:32 glc
	s_waitcnt vmcnt(0)
	v_cmpx_ne_u64_e64 v[2:3], v[13:14]
	s_cbranch_execz .LBB1_510
; %bb.508:                              ;   in Loop: Header=BB1_214 Depth=2
	s_mov_b32 s11, 0
.LBB1_509:                              ;   Parent Loop BB1_13 Depth=1
                                        ;     Parent Loop BB1_214 Depth=2
                                        ; =>    This Inner Loop Header: Depth=3
	v_mov_b32_e32 v0, s8
	v_mov_b32_e32 v1, s9
	s_sleep 1
	global_store_dwordx2 v[5:6], v[2:3], off
	s_waitcnt_vscnt null, 0x0
	global_atomic_cmpswap_x2 v[0:1], v44, v[0:3], s[6:7] offset:32 glc
	s_waitcnt vmcnt(0)
	v_cmp_eq_u64_e32 vcc_lo, v[0:1], v[2:3]
	v_mov_b32_e32 v3, v1
	v_mov_b32_e32 v2, v0
	s_or_b32 s11, vcc_lo, s11
	s_andn2_b32 exec_lo, exec_lo, s11
	s_cbranch_execnz .LBB1_509
.LBB1_510:                              ;   in Loop: Header=BB1_214 Depth=2
	s_or_b32 exec_lo, exec_lo, s10
	global_load_dwordx2 v[0:1], v44, s[6:7] offset:16
	s_mov_b32 s11, exec_lo
	s_mov_b32 s10, exec_lo
	v_mbcnt_lo_u32_b32 v2, s11, 0
	v_cmpx_eq_u32_e32 0, v2
	s_cbranch_execz .LBB1_512
; %bb.511:                              ;   in Loop: Header=BB1_214 Depth=2
	s_bcnt1_i32_b32 s11, s11
	v_mov_b32_e32 v43, s11
	s_waitcnt vmcnt(0)
	global_atomic_add_x2 v[0:1], v[43:44], off offset:8
.LBB1_512:                              ;   in Loop: Header=BB1_214 Depth=2
	s_or_b32 exec_lo, exec_lo, s10
	s_waitcnt vmcnt(0)
	global_load_dwordx2 v[2:3], v[0:1], off offset:16
	s_waitcnt vmcnt(0)
	v_cmp_eq_u64_e32 vcc_lo, 0, v[2:3]
	s_cbranch_vccnz .LBB1_514
; %bb.513:                              ;   in Loop: Header=BB1_214 Depth=2
	global_load_dword v43, v[0:1], off offset:24
	s_waitcnt vmcnt(0)
	v_readfirstlane_b32 s10, v43
	s_waitcnt_vscnt null, 0x0
	global_store_dwordx2 v[2:3], v[43:44], off
	s_and_b32 m0, s10, 0x7fffff
	s_sendmsg sendmsg(MSG_INTERRUPT)
.LBB1_514:                              ;   in Loop: Header=BB1_214 Depth=2
	s_or_b32 exec_lo, exec_lo, s5
	s_branch .LBB1_518
	.p2align	6
.LBB1_515:                              ;   in Loop: Header=BB1_518 Depth=3
	s_or_b32 exec_lo, exec_lo, s5
	v_readfirstlane_b32 s5, v0
	s_cmp_eq_u32 s5, 0
	s_cbranch_scc1 .LBB1_517
; %bb.516:                              ;   in Loop: Header=BB1_518 Depth=3
	s_sleep 1
	s_cbranch_execnz .LBB1_518
	s_branch .LBB1_520
	.p2align	6
.LBB1_517:                              ;   in Loop: Header=BB1_214 Depth=2
	s_branch .LBB1_520
.LBB1_518:                              ;   Parent Loop BB1_13 Depth=1
                                        ;     Parent Loop BB1_214 Depth=2
                                        ; =>    This Inner Loop Header: Depth=3
	v_mov_b32_e32 v0, 1
	s_and_saveexec_b32 s5, s4
	s_cbranch_execz .LBB1_515
; %bb.519:                              ;   in Loop: Header=BB1_518 Depth=3
	global_load_dword v0, v[9:10], off offset:20 glc dlc
	s_waitcnt vmcnt(0)
	buffer_gl1_inv
	buffer_gl0_inv
	v_and_b32_e32 v0, 1, v0
	s_branch .LBB1_515
.LBB1_520:                              ;   in Loop: Header=BB1_214 Depth=2
	s_and_b32 exec_lo, exec_lo, s4
	s_cbranch_execz .LBB1_524
; %bb.521:                              ;   in Loop: Header=BB1_214 Depth=2
	s_clause 0x2
	global_load_dwordx2 v[0:1], v44, s[6:7] offset:40
	global_load_dwordx2 v[9:10], v44, s[6:7] offset:24 glc dlc
	global_load_dwordx2 v[2:3], v44, s[6:7]
	s_waitcnt vmcnt(2)
	v_readfirstlane_b32 s10, v0
	v_readfirstlane_b32 s11, v1
	s_add_u32 s12, s10, 1
	s_addc_u32 s13, s11, 0
	s_add_u32 s4, s12, s8
	s_addc_u32 s5, s13, s9
	s_cmp_eq_u64 s[4:5], 0
	s_cselect_b32 s5, s13, s5
	s_cselect_b32 s4, s12, s4
	v_mov_b32_e32 v8, s5
	s_and_b64 s[8:9], s[4:5], s[10:11]
	v_mov_b32_e32 v7, s4
	s_mul_i32 s9, s9, 24
	s_mul_hi_u32 s10, s8, 24
	s_mul_i32 s8, s8, 24
	s_add_i32 s10, s10, s9
	s_waitcnt vmcnt(0)
	v_add_co_u32 v5, vcc_lo, v2, s8
	v_add_co_ci_u32_e64 v6, null, s10, v3, vcc_lo
	global_store_dwordx2 v[5:6], v[9:10], off
	s_waitcnt_vscnt null, 0x0
	global_atomic_cmpswap_x2 v[2:3], v44, v[7:10], s[6:7] offset:24 glc
	s_waitcnt vmcnt(0)
	v_cmp_ne_u64_e32 vcc_lo, v[2:3], v[9:10]
	s_and_b32 exec_lo, exec_lo, vcc_lo
	s_cbranch_execz .LBB1_524
; %bb.522:                              ;   in Loop: Header=BB1_214 Depth=2
	s_mov_b32 s8, 0
.LBB1_523:                              ;   Parent Loop BB1_13 Depth=1
                                        ;     Parent Loop BB1_214 Depth=2
                                        ; =>    This Inner Loop Header: Depth=3
	v_mov_b32_e32 v0, s4
	v_mov_b32_e32 v1, s5
	s_sleep 1
	global_store_dwordx2 v[5:6], v[2:3], off
	s_waitcnt_vscnt null, 0x0
	global_atomic_cmpswap_x2 v[0:1], v44, v[0:3], s[6:7] offset:24 glc
	s_waitcnt vmcnt(0)
	v_cmp_eq_u64_e32 vcc_lo, v[0:1], v[2:3]
	v_mov_b32_e32 v3, v1
	v_mov_b32_e32 v2, v0
	s_or_b32 s8, vcc_lo, s8
	s_andn2_b32 exec_lo, exec_lo, s8
	s_cbranch_execnz .LBB1_523
.LBB1_524:                              ;   in Loop: Header=BB1_214 Depth=2
	s_or_b32 exec_lo, exec_lo, s21
	buffer_load_ubyte v0, off, s[0:3], 0 offset:16
	v_mov_b32_e32 v2, 0x58
	s_mov_b32 s7, exec_lo
	global_store_byte v[25:26], v2, off offset:48
	global_store_dword v[25:26], v44, off offset:52
	v_cmpx_lt_i32_e32 0, v29
	s_cbranch_execz .LBB1_530
; %bb.525:                              ;   in Loop: Header=BB1_214 Depth=2
	s_mov_b32 s4, 0
                                        ; implicit-def: $vgpr1
	s_mov_b32 s5, exec_lo
	v_cmpx_lt_u32_e32 3, v29
	s_xor_b32 s8, exec_lo, s5
	s_cbranch_execnz .LBB1_538
; %bb.526:                              ;   in Loop: Header=BB1_214 Depth=2
	s_andn2_saveexec_b32 s5, s8
	s_cbranch_execnz .LBB1_557
.LBB1_527:                              ;   in Loop: Header=BB1_214 Depth=2
	s_or_b32 exec_lo, exec_lo, s5
	v_mov_b32_e32 v2, 0x58
	s_and_saveexec_b32 s5, s4
	s_cbranch_execz .LBB1_529
.LBB1_528:                              ;   in Loop: Header=BB1_214 Depth=2
	s_waitcnt vmcnt(0)
	v_mov_b32_e32 v2, v1
	global_store_byte v[25:26], v1, off offset:48
.LBB1_529:                              ;   in Loop: Header=BB1_214 Depth=2
	s_or_b32 exec_lo, exec_lo, s5
.LBB1_530:                              ;   in Loop: Header=BB1_214 Depth=2
	s_or_b32 exec_lo, exec_lo, s7
	s_waitcnt vmcnt(0)
	v_cmp_eq_u16_sdwa s4, v0, v2 src0_sel:BYTE_0 src1_sel:BYTE_0
	v_cmp_ne_u16_sdwa s6, v0, v2 src0_sel:BYTE_0 src1_sel:BYTE_0
	v_mov_b32_e32 v0, 16
	s_and_saveexec_b32 s5, s6
	s_cbranch_execz .LBB1_536
; %bb.531:                              ;   in Loop: Header=BB1_214 Depth=2
	buffer_load_ubyte v0, off, s[0:3], 0 offset:32
	s_waitcnt vmcnt(0)
	v_cmp_eq_u16_sdwa s6, v0, v2 src0_sel:DWORD src1_sel:BYTE_0
	v_cmp_ne_u16_sdwa s8, v0, v2 src0_sel:DWORD src1_sel:BYTE_0
	v_mov_b32_e32 v0, s51
	s_and_saveexec_b32 s7, s8
	s_cbranch_execz .LBB1_535
; %bb.532:                              ;   in Loop: Header=BB1_214 Depth=2
	buffer_load_ubyte v0, off, s[0:3], 0 offset:48
	s_waitcnt vmcnt(0)
	v_cmp_eq_u16_sdwa s8, v0, v2 src0_sel:DWORD src1_sel:BYTE_0
	v_cmp_ne_u16_sdwa s10, v0, v2 src0_sel:DWORD src1_sel:BYTE_0
	v_mov_b32_e32 v0, s58
	s_and_saveexec_b32 s9, s10
	s_cbranch_execz .LBB1_534
; %bb.533:                              ;   in Loop: Header=BB1_214 Depth=2
	buffer_load_ubyte v0, off, s[0:3], 0 offset:64
	s_andn2_b32 s8, s8, exec_lo
	s_waitcnt vmcnt(0)
	v_cmp_eq_u16_sdwa s10, v0, v2 src0_sel:DWORD src1_sel:BYTE_0
	v_mov_b32_e32 v0, s59
	s_and_b32 s10, s10, exec_lo
	s_or_b32 s8, s8, s10
.LBB1_534:                              ;   in Loop: Header=BB1_214 Depth=2
	s_or_b32 exec_lo, exec_lo, s9
	s_andn2_b32 s6, s6, exec_lo
	s_and_b32 s8, s8, exec_lo
	s_or_b32 s6, s6, s8
.LBB1_535:                              ;   in Loop: Header=BB1_214 Depth=2
	s_or_b32 exec_lo, exec_lo, s7
	s_andn2_b32 s4, s4, exec_lo
	s_and_b32 s6, s6, exec_lo
	s_or_b32 s4, s4, s6
.LBB1_536:                              ;   in Loop: Header=BB1_214 Depth=2
	s_or_b32 exec_lo, exec_lo, s5
	s_and_b32 exec_lo, exec_lo, s4
	s_cbranch_execz .LBB1_213
; %bb.537:                              ;   in Loop: Header=BB1_214 Depth=2
	buffer_load_dword v0, v0, s[0:3], 0 offen offset:8
	s_waitcnt vmcnt(0)
	global_store_dword v[25:26], v0, off offset:52
	s_branch .LBB1_213
.LBB1_538:                              ;   in Loop: Header=BB1_214 Depth=2
                                        ; implicit-def: $vgpr1
	s_mov_b32 s5, exec_lo
	v_cmpx_lt_u32_e32 5, v29
	s_xor_b32 s9, exec_lo, s5
	s_cbranch_execz .LBB1_554
; %bb.539:                              ;   in Loop: Header=BB1_214 Depth=2
                                        ; implicit-def: $vgpr1
	s_mov_b32 s5, exec_lo
	v_cmpx_ne_u32_e32 6, v29
	s_xor_b32 s10, exec_lo, s5
	s_cbranch_execz .LBB1_551
; %bb.540:                              ;   in Loop: Header=BB1_214 Depth=2
	s_waitcnt vmcnt(0)
	v_mov_b32_e32 v1, v0
	s_mov_b32 s11, exec_lo
	v_cmp_gt_i32_e32 vcc_lo, 7, v28
	v_cmpx_lt_i32_e32 6, v28
	s_cbranch_execz .LBB1_550
; %bb.541:                              ;   in Loop: Header=BB1_214 Depth=2
	buffer_load_dword v1, off, s[0:3], 0 offset:60
	s_waitcnt vmcnt(0)
	v_cmp_eq_u32_e64 s4, 7, v1
	v_cmp_ne_u32_e64 s5, 7, v1
	v_mov_b32_e32 v1, 0x46
	s_and_saveexec_b32 s12, s5
	s_cbranch_execz .LBB1_549
; %bb.542:                              ;   in Loop: Header=BB1_214 Depth=2
	s_clause 0x1
	buffer_load_dword v2, off, s[0:3], 0 offset:24
	buffer_load_dword v3, off, s[0:3], 0 offset:40
	v_mov_b32_e32 v1, 0x46
	s_mov_b32 s13, exec_lo
	s_waitcnt vmcnt(0)
	v_cmp_eq_u32_e64 s5, v2, v3
	v_cmpx_ne_u32_e64 v2, v3
	s_cbranch_execz .LBB1_548
; %bb.543:                              ;   in Loop: Header=BB1_214 Depth=2
	v_mov_b32_e32 v1, v0
	s_mov_b32 s15, -1
	s_mov_b32 s14, exec_lo
	v_cmpx_le_u32_e64 v2, v3
	s_cbranch_execz .LBB1_547
; %bb.544:                              ;   in Loop: Header=BB1_214 Depth=2
	v_cmp_gt_u32_e64 s6, v3, v2
	v_mov_b32_e32 v1, v0
	s_mov_b32 s15, 0
	s_and_saveexec_b32 s16, s6
	s_xor_b32 s6, exec_lo, s16
	s_cbranch_execz .LBB1_546
; %bb.545:                              ;   in Loop: Header=BB1_214 Depth=2
	buffer_load_ubyte v1, off, s[0:3], 0 offset:32
	s_mov_b32 s15, exec_lo
.LBB1_546:                              ;   in Loop: Header=BB1_214 Depth=2
	s_or_b32 exec_lo, exec_lo, s6
	s_orn2_b32 s15, s15, exec_lo
.LBB1_547:                              ;   in Loop: Header=BB1_214 Depth=2
	s_or_b32 exec_lo, exec_lo, s14
	s_andn2_b32 s5, s5, exec_lo
	s_and_b32 s6, s15, exec_lo
	s_or_b32 s5, s5, s6
.LBB1_548:                              ;   in Loop: Header=BB1_214 Depth=2
	s_or_b32 exec_lo, exec_lo, s13
	s_andn2_b32 s4, s4, exec_lo
	s_and_b32 s5, s5, exec_lo
	s_or_b32 s4, s4, s5
.LBB1_549:                              ;   in Loop: Header=BB1_214 Depth=2
	s_or_b32 exec_lo, exec_lo, s12
	s_andn2_b32 s5, vcc_lo, exec_lo
	s_and_b32 s4, s4, exec_lo
	s_or_b32 vcc_lo, s5, s4
.LBB1_550:                              ;   in Loop: Header=BB1_214 Depth=2
	s_or_b32 exec_lo, exec_lo, s11
	s_and_b32 s4, vcc_lo, exec_lo
                                        ; implicit-def: $vgpr28
.LBB1_551:                              ;   in Loop: Header=BB1_214 Depth=2
	s_andn2_saveexec_b32 s5, s10
	s_cbranch_execz .LBB1_553
; %bb.552:                              ;   in Loop: Header=BB1_214 Depth=2
	v_cmp_gt_i32_e32 vcc_lo, 4, v28
	s_waitcnt vmcnt(0)
	v_mov_b32_e32 v1, v0
	s_andn2_b32 s4, s4, exec_lo
	s_and_b32 s6, vcc_lo, exec_lo
	s_or_b32 s4, s4, s6
.LBB1_553:                              ;   in Loop: Header=BB1_214 Depth=2
	s_or_b32 exec_lo, exec_lo, s5
	s_and_b32 s4, s4, exec_lo
                                        ; implicit-def: $vgpr28
.LBB1_554:                              ;   in Loop: Header=BB1_214 Depth=2
	s_andn2_saveexec_b32 s5, s9
	s_cbranch_execz .LBB1_556
; %bb.555:                              ;   in Loop: Header=BB1_214 Depth=2
	v_cmp_gt_i32_e32 vcc_lo, 3, v28
	s_waitcnt vmcnt(0)
	v_mov_b32_e32 v1, v0
	s_andn2_b32 s4, s4, exec_lo
	s_and_b32 s6, vcc_lo, exec_lo
	s_or_b32 s4, s4, s6
.LBB1_556:                              ;   in Loop: Header=BB1_214 Depth=2
	s_or_b32 exec_lo, exec_lo, s5
	s_and_b32 s4, s4, exec_lo
                                        ; implicit-def: $vgpr28
	s_andn2_saveexec_b32 s5, s8
	s_cbranch_execz .LBB1_527
.LBB1_557:                              ;   in Loop: Header=BB1_214 Depth=2
	v_cmp_eq_u32_e32 vcc_lo, 0, v28
	s_waitcnt vmcnt(0)
	v_mov_b32_e32 v1, v0
	s_andn2_b32 s4, s4, exec_lo
	s_and_b32 s6, vcc_lo, exec_lo
	s_or_b32 s4, s4, s6
	s_or_b32 exec_lo, exec_lo, s5
	v_mov_b32_e32 v2, 0x58
	s_and_saveexec_b32 s5, s4
	s_cbranch_execnz .LBB1_528
	s_branch .LBB1_529
.LBB1_558:                              ;   in Loop: Header=BB1_13 Depth=1
	s_or_b32 exec_lo, exec_lo, s18
	s_and_saveexec_b32 s4, s39
	s_cbranch_execz .LBB1_561
; %bb.559:                              ;   in Loop: Header=BB1_13 Depth=1
	v_mov_b32_e32 v0, v67
	v_or_b32_e32 v43, 32, v67
	v_mov_b32_e32 v1, v68
	s_mov_b32 s5, 0
.LBB1_560:                              ;   Parent Loop BB1_13 Depth=1
                                        ; =>  This Inner Loop Header: Depth=2
	v_mad_u64_u32 v[2:3], null, v0, 24, v[59:60]
	v_cmp_le_u64_e32 vcc_lo, s[54:55], v[43:44]
	s_or_b32 s5, vcc_lo, s5
	v_mov_b32_e32 v0, v3
	v_mad_u64_u32 v[5:6], null, v1, 24, v[0:1]
	v_mov_b32_e32 v0, v43
	v_mov_b32_e32 v1, v44
	v_add_nc_u32_e32 v43, 32, v43
	v_mov_b32_e32 v3, v5
	global_store_dword v[2:3], v82, off offset:8
	s_andn2_b32 exec_lo, exec_lo, s5
	s_cbranch_execnz .LBB1_560
.LBB1_561:                              ;   in Loop: Header=BB1_13 Depth=1
	s_or_b32 exec_lo, exec_lo, s4
	s_mov_b32 s8, -1
	s_mov_b32 s4, -1
	s_and_saveexec_b32 s9, s38
	s_cbranch_execz .LBB1_702
; %bb.562:                              ;   in Loop: Header=BB1_13 Depth=1
	v_sub_nc_u32_e32 v0, v77, v4
	v_max_i32_e32 v2, 1, v4
	s_mov_b64 s[6:7], 0
	s_mov_b32 s5, 0
	v_ashrrev_i32_e32 v1, 31, v0
	v_add_co_u32 v0, vcc_lo, v63, v0
	v_add_co_ci_u32_e64 v1, null, v64, v1, vcc_lo
	.p2align	6
.LBB1_563:                              ;   Parent Loop BB1_13 Depth=1
                                        ; =>  This Inner Loop Header: Depth=2
	v_add_co_u32 v5, vcc_lo, v0, s6
	v_add_co_ci_u32_e64 v6, null, s7, v1, vcc_lo
	global_load_ubyte v3, v[5:6], off
	v_add_co_u32 v5, vcc_lo, v61, s6
	s_add_u32 s6, s6, 1
	v_add_co_ci_u32_e64 v6, null, s7, v62, vcc_lo
	v_cmp_eq_u32_e64 s4, s6, v2
	s_addc_u32 s7, s7, 0
	s_or_b32 s5, s4, s5
	s_waitcnt vmcnt(0)
	global_store_byte v[5:6], v3, off
	s_andn2_b32 exec_lo, exec_lo, s5
	s_cbranch_execnz .LBB1_563
; %bb.564:                              ;   in Loop: Header=BB1_13 Depth=1
	s_or_b32 exec_lo, exec_lo, s5
	s_andn2_b32 vcc_lo, exec_lo, s61
	s_cbranch_vccnz .LBB1_688
; %bb.565:                              ;   in Loop: Header=BB1_13 Depth=1
	v_mov_b32_e32 v2, v61
	v_xor_b32_e32 v8, 0x3fb0bb5f, v4
	v_add_nc_u32_e32 v9, 4, v4
	v_mov_b32_e32 v10, 0x58
	v_mov_b32_e32 v7, 0
	;; [unrolled: 1-line block ×3, first 2 shown]
	s_mov_b32 s10, 0
	s_mov_b32 s11, 0
	s_branch .LBB1_570
.LBB1_566:                              ;   in Loop: Header=BB1_570 Depth=2
	s_or_b32 exec_lo, exec_lo, s14
	s_and_b32 s4, vcc_lo, s4
	s_and_b32 s4, s4, exec_lo
.LBB1_567:                              ;   in Loop: Header=BB1_570 Depth=2
	s_or_b32 exec_lo, exec_lo, s12
	s_and_b32 s4, s4, exec_lo
.LBB1_568:                              ;   in Loop: Header=BB1_570 Depth=2
	s_or_b32 exec_lo, exec_lo, s7
	s_and_b32 s4, s4, exec_lo
.LBB1_569:                              ;   in Loop: Header=BB1_570 Depth=2
	s_or_b32 exec_lo, exec_lo, s6
	s_add_i32 s11, s11, 1
	v_mov_b32_e32 v10, v12
	s_cmp_eq_u32 s11, s54
	s_cselect_b32 s5, -1, 0
	s_xor_b32 s4, s4, -1
	s_or_b32 s4, s4, s5
	s_and_b32 s4, exec_lo, s4
	s_or_b32 s10, s4, s10
	s_andn2_b32 exec_lo, exec_lo, s10
	s_cbranch_execz .LBB1_687
.LBB1_570:                              ;   Parent Loop BB1_13 Depth=1
                                        ; =>  This Loop Header: Depth=2
                                        ;       Child Loop BB1_576 Depth 3
                                        ;       Child Loop BB1_595 Depth 3
	;; [unrolled: 1-line block ×3, first 2 shown]
                                        ;         Child Loop BB1_606 Depth 4
                                        ;       Child Loop BB1_620 Depth 3
                                        ;       Child Loop BB1_639 Depth 3
	;; [unrolled: 1-line block ×3, first 2 shown]
                                        ;         Child Loop BB1_650 Depth 4
	v_and_b32_e32 v11, 3, v2
                                        ; implicit-def: $vgpr15
	v_cmp_ne_u32_e32 vcc_lo, 0, v11
	s_and_saveexec_b32 s4, vcc_lo
	s_xor_b32 s6, exec_lo, s4
	s_cbranch_execz .LBB1_593
; %bb.571:                              ;   in Loop: Header=BB1_570 Depth=2
	v_mov_b32_e32 v0, 0
	s_mov_b32 s5, exec_lo
	v_cmpx_gt_i32_e32 3, v11
	s_cbranch_execz .LBB1_575
; %bb.572:                              ;   in Loop: Header=BB1_570 Depth=2
	v_mov_b32_e32 v0, 0
	s_mov_b32 s7, exec_lo
	v_cmpx_ne_u32_e32 2, v11
	s_cbranch_execz .LBB1_574
; %bb.573:                              ;   in Loop: Header=BB1_570 Depth=2
	global_load_ubyte v0, v[2:3], off offset:2
	s_waitcnt vmcnt(0)
	v_lshlrev_b32_e32 v0, 16, v0
.LBB1_574:                              ;   in Loop: Header=BB1_570 Depth=2
	s_or_b32 exec_lo, exec_lo, s7
	global_load_ubyte v1, v[2:3], off offset:1
	s_waitcnt vmcnt(0)
	v_lshl_or_b32 v0, v1, 8, v0
.LBB1_575:                              ;   in Loop: Header=BB1_570 Depth=2
	s_or_b32 exec_lo, exec_lo, s5
	global_load_ubyte v1, v[2:3], off
	v_sub_nc_u32_e32 v5, 4, v11
	v_lshlrev_b32_e32 v16, 3, v11
	v_add_nc_u32_e32 v14, v4, v11
	v_mov_b32_e32 v13, v8
	s_mov_b32 s7, 0
	v_lshlrev_b32_e32 v17, 3, v5
	s_waitcnt vmcnt(0)
	v_or_b32_e32 v6, v0, v1
	v_add_co_u32 v0, s4, v2, v5
	v_add_co_ci_u32_e64 v1, null, 0, v3, s4
	v_lshlrev_b32_e32 v5, v16, v6
	.p2align	6
.LBB1_576:                              ;   Parent Loop BB1_13 Depth=1
                                        ;     Parent Loop BB1_570 Depth=2
                                        ; =>    This Inner Loop Header: Depth=3
	global_load_dword v12, v[0:1], off
	v_lshrrev_b32_e32 v5, v16, v5
	v_mul_lo_u32 v6, 0x5bd1e995, v13
	v_add_nc_u32_e32 v14, -4, v14
	v_add_co_u32 v0, s4, v0, 4
	v_add_co_ci_u32_e64 v1, null, 0, v1, s4
	v_cmp_gt_u32_e64 s5, 8, v14
	s_or_b32 s7, s5, s7
	s_waitcnt vmcnt(0)
	v_lshl_or_b32 v5, v12, v17, v5
	v_mul_lo_u32 v5, 0x5bd1e995, v5
	v_xor_b32_sdwa v5, v5, v5 dst_sel:DWORD dst_unused:UNUSED_PAD src0_sel:BYTE_3 src1_sel:DWORD
	v_mul_lo_u32 v13, 0x5bd1e995, v5
	v_mov_b32_e32 v5, v12
	v_xor_b32_e32 v13, v13, v6
	s_andn2_b32 exec_lo, exec_lo, s7
	s_cbranch_execnz .LBB1_576
; %bb.577:                              ;   in Loop: Header=BB1_570 Depth=2
	s_or_b32 exec_lo, exec_lo, s7
	v_add_co_u32 v5, s4, v0, -4
	v_add_nc_u32_e32 v18, -4, v14
	v_add_co_ci_u32_e64 v6, null, -1, v1, s4
	s_mov_b32 s5, exec_lo
                                        ; implicit-def: $vgpr15
	v_cmpx_ge_u32_e64 v18, v11
	s_xor_b32 s5, exec_lo, s5
	s_cbranch_execz .LBB1_587
; %bb.578:                              ;   in Loop: Header=BB1_570 Depth=2
	v_cmp_lt_i32_e64 s4, 2, v11
	s_mov_b32 s7, 0
                                        ; implicit-def: $vgpr15
	s_and_saveexec_b32 s12, s4
	s_xor_b32 s4, exec_lo, s12
	s_cbranch_execnz .LBB1_665
; %bb.579:                              ;   in Loop: Header=BB1_570 Depth=2
	s_andn2_saveexec_b32 s12, s4
	s_cbranch_execnz .LBB1_666
.LBB1_580:                              ;   in Loop: Header=BB1_570 Depth=2
	s_or_b32 exec_lo, exec_lo, s12
	v_mov_b32_e32 v19, 0
	s_and_saveexec_b32 s4, s7
	s_cbranch_execz .LBB1_582
.LBB1_581:                              ;   in Loop: Header=BB1_570 Depth=2
	global_load_ubyte v19, v[5:6], off offset:5
	s_waitcnt vmcnt(0)
	v_lshl_or_b32 v19, v19, 8, v15
.LBB1_582:                              ;   in Loop: Header=BB1_570 Depth=2
	s_or_b32 exec_lo, exec_lo, s4
	global_load_ubyte v15, v[0:1], off
	v_lshrrev_b32_e32 v16, v16, v12
	v_add_co_u32 v5, s4, v5, v11
	v_add_co_ci_u32_e64 v6, null, 0, v6, s4
	s_mov_b32 s7, 0
	s_waitcnt vmcnt(0)
	v_or_b32_e32 v15, v19, v15
	v_lshl_or_b32 v15, v15, v17, v16
	v_mul_lo_u32 v16, 0x5bd1e995, v13
	v_sub_nc_u32_e32 v17, v18, v11
	v_mul_lo_u32 v15, 0x5bd1e995, v15
	v_cmp_lt_i32_e64 s4, 1, v17
	v_xor_b32_sdwa v15, v15, v15 dst_sel:DWORD dst_unused:UNUSED_PAD src0_sel:BYTE_3 src1_sel:DWORD
	v_mul_lo_u32 v15, 0x5bd1e995, v15
	v_xor_b32_e32 v15, v15, v16
                                        ; implicit-def: $vgpr16
	s_and_saveexec_b32 s12, s4
	s_xor_b32 s4, exec_lo, s12
	s_cbranch_execnz .LBB1_667
; %bb.583:                              ;   in Loop: Header=BB1_570 Depth=2
	s_andn2_saveexec_b32 s12, s4
	s_cbranch_execnz .LBB1_668
.LBB1_584:                              ;   in Loop: Header=BB1_570 Depth=2
	s_or_b32 exec_lo, exec_lo, s12
	s_and_saveexec_b32 s4, s7
	s_cbranch_execz .LBB1_586
.LBB1_585:                              ;   in Loop: Header=BB1_570 Depth=2
	global_load_ubyte v5, v[5:6], off offset:4
	s_waitcnt vmcnt(0)
	v_xor_b32_e32 v5, v16, v5
	v_mul_lo_u32 v15, 0x5bd1e995, v5
.LBB1_586:                              ;   in Loop: Header=BB1_570 Depth=2
	s_or_b32 exec_lo, exec_lo, s4
                                        ; implicit-def: $vgpr16
                                        ; implicit-def: $vgpr17
                                        ; implicit-def: $vgpr5_vgpr6
.LBB1_587:                              ;   in Loop: Header=BB1_570 Depth=2
	s_andn2_saveexec_b32 s5, s5
	s_cbranch_execz .LBB1_656
; %bb.588:                              ;   in Loop: Header=BB1_570 Depth=2
	v_cmp_lt_i32_e64 s4, 5, v14
	s_mov_b32 s7, 0
                                        ; implicit-def: $vgpr15
	s_and_saveexec_b32 s12, s4
	s_xor_b32 s4, exec_lo, s12
	s_cbranch_execnz .LBB1_669
; %bb.589:                              ;   in Loop: Header=BB1_570 Depth=2
	s_andn2_saveexec_b32 s12, s4
	s_cbranch_execnz .LBB1_670
.LBB1_590:                              ;   in Loop: Header=BB1_570 Depth=2
	s_or_b32 exec_lo, exec_lo, s12
	v_mov_b32_e32 v5, 0
	s_and_saveexec_b32 s4, s7
	s_cbranch_execz .LBB1_592
.LBB1_591:                              ;   in Loop: Header=BB1_570 Depth=2
	global_load_ubyte v0, v[0:1], off
	s_waitcnt vmcnt(0)
	v_or_b32_e32 v5, v15, v0
.LBB1_592:                              ;   in Loop: Header=BB1_570 Depth=2
	s_or_b32 exec_lo, exec_lo, s4
	v_lshrrev_b32_e32 v0, v16, v12
	v_lshl_or_b32 v0, v5, v17, v0
	v_xor_b32_e32 v0, v0, v13
	v_mul_lo_u32 v15, 0x5bd1e995, v0
	s_or_b32 exec_lo, exec_lo, s5
.LBB1_593:                              ;   in Loop: Header=BB1_570 Depth=2
	s_andn2_saveexec_b32 s6, s6
	s_cbranch_execz .LBB1_601
.LBB1_594:                              ;   in Loop: Header=BB1_570 Depth=2
	v_mov_b32_e32 v0, v2
	v_mov_b32_e32 v5, v9
	;; [unrolled: 1-line block ×4, first 2 shown]
	s_mov_b32 s7, 0
	.p2align	6
.LBB1_595:                              ;   Parent Loop BB1_13 Depth=1
                                        ;     Parent Loop BB1_570 Depth=2
                                        ; =>    This Inner Loop Header: Depth=3
	global_load_dword v6, v[0:1], off
	v_mul_lo_u32 v12, 0x5bd1e995, v15
	v_add_nc_u32_e32 v5, -4, v5
	v_add_co_u32 v0, s4, v0, 4
	v_add_co_ci_u32_e64 v1, null, 0, v1, s4
	v_cmp_gt_u32_e64 s5, 8, v5
	s_or_b32 s7, s5, s7
	s_waitcnt vmcnt(0)
	v_mul_lo_u32 v6, 0x5bd1e995, v6
	v_xor_b32_sdwa v6, v6, v6 dst_sel:DWORD dst_unused:UNUSED_PAD src0_sel:BYTE_3 src1_sel:DWORD
	v_mul_lo_u32 v6, 0x5bd1e995, v6
	v_xor_b32_e32 v15, v6, v12
	s_andn2_b32 exec_lo, exec_lo, s7
	s_cbranch_execnz .LBB1_595
; %bb.596:                              ;   in Loop: Header=BB1_570 Depth=2
	s_or_b32 exec_lo, exec_lo, s7
	s_mov_b32 s5, 0
	s_mov_b32 s7, exec_lo
                                        ; implicit-def: $vgpr6
	v_cmpx_lt_i32_e32 5, v5
	s_xor_b32 s7, exec_lo, s7
	s_cbranch_execnz .LBB1_657
; %bb.597:                              ;   in Loop: Header=BB1_570 Depth=2
	s_andn2_saveexec_b32 s7, s7
	s_cbranch_execnz .LBB1_660
.LBB1_598:                              ;   in Loop: Header=BB1_570 Depth=2
	s_or_b32 exec_lo, exec_lo, s7
	s_and_saveexec_b32 s4, s5
	s_cbranch_execz .LBB1_600
.LBB1_599:                              ;   in Loop: Header=BB1_570 Depth=2
	global_load_ubyte v0, v[0:1], off
	s_waitcnt vmcnt(0)
	v_xor_b32_e32 v0, v6, v0
	v_mul_lo_u32 v15, 0x5bd1e995, v0
.LBB1_600:                              ;   in Loop: Header=BB1_570 Depth=2
	s_or_b32 exec_lo, exec_lo, s4
.LBB1_601:                              ;   in Loop: Header=BB1_570 Depth=2
	s_or_b32 exec_lo, exec_lo, s6
	v_lshrrev_b32_e32 v0, 13, v15
	s_mov_b32 s7, -1
	s_mov_b32 s5, exec_lo
	v_xor_b32_e32 v0, v0, v15
	v_mul_lo_u32 v0, 0x5bd1e995, v0
	v_lshrrev_b32_e32 v1, 15, v0
	v_xor_b32_e32 v0, v1, v0
	v_mul_hi_u32 v1, v0, v80
	v_mul_lo_u32 v1, v1, s54
	v_sub_nc_u32_e32 v0, v0, v1
	v_subrev_nc_u32_e32 v1, s54, v0
	v_cmp_le_u32_e64 s4, s54, v0
	v_cndmask_b32_e64 v0, v0, v1, s4
	v_subrev_nc_u32_e32 v1, s54, v0
	v_cmp_le_u32_e64 s4, s54, v0
	v_cndmask_b32_e64 v5, v0, v1, s4
	v_mad_u64_u32 v[0:1], null, v5, 24, v[59:60]
	global_load_dword v6, v[0:1], off offset:8
	s_waitcnt vmcnt(0)
	v_cmpx_ne_u32_e32 -1, v6
	s_cbranch_execz .LBB1_613
; %bb.602:                              ;   in Loop: Header=BB1_570 Depth=2
	s_mov_b32 s12, 0
                                        ; implicit-def: $sgpr13
	s_branch .LBB1_604
.LBB1_603:                              ;   in Loop: Header=BB1_604 Depth=3
	s_or_b32 exec_lo, exec_lo, s14
	s_xor_b32 s4, s7, -1
	s_and_b32 s6, exec_lo, s6
	s_or_b32 s12, s6, s12
	s_andn2_b32 s6, s13, exec_lo
	s_and_b32 s4, s4, exec_lo
	s_or_b32 s13, s6, s4
	s_andn2_b32 exec_lo, exec_lo, s12
	s_cbranch_execz .LBB1_612
.LBB1_604:                              ;   Parent Loop BB1_13 Depth=1
                                        ;     Parent Loop BB1_570 Depth=2
                                        ; =>    This Loop Header: Depth=3
                                        ;         Child Loop BB1_606 Depth 4
	global_load_dwordx2 v[0:1], v[0:1], off
	s_mov_b64 s[6:7], 0
	s_mov_b32 s15, 0
                                        ; implicit-def: $sgpr14
                                        ; implicit-def: $sgpr17
                                        ; implicit-def: $sgpr16
	s_inst_prefetch 0x1
	s_branch .LBB1_606
	.p2align	6
.LBB1_605:                              ;   in Loop: Header=BB1_606 Depth=4
	s_or_b32 exec_lo, exec_lo, s18
	s_xor_b32 s4, s16, -1
	s_and_b32 s18, exec_lo, s17
	s_or_b32 s15, s18, s15
	s_andn2_b32 s14, s14, exec_lo
	s_and_b32 s4, s4, exec_lo
	s_or_b32 s14, s14, s4
	s_andn2_b32 exec_lo, exec_lo, s15
	s_cbranch_execz .LBB1_608
.LBB1_606:                              ;   Parent Loop BB1_13 Depth=1
                                        ;     Parent Loop BB1_570 Depth=2
                                        ;       Parent Loop BB1_604 Depth=3
                                        ; =>      This Inner Loop Header: Depth=4
	s_waitcnt vmcnt(0)
	v_add_co_u32 v12, s4, v0, s6
	v_add_co_ci_u32_e64 v13, null, s7, v1, s4
	v_add_co_u32 v14, s4, v2, s6
	v_add_co_ci_u32_e64 v15, null, s7, v3, s4
	flat_load_ubyte v12, v[12:13]
	global_load_ubyte v13, v[14:15], off
	s_or_b32 s16, s16, exec_lo
	s_or_b32 s17, s17, exec_lo
	s_mov_b32 s18, exec_lo
	s_waitcnt vmcnt(0) lgkmcnt(0)
	v_cmpx_eq_u16_e64 v12, v13
	s_cbranch_execz .LBB1_605
; %bb.607:                              ;   in Loop: Header=BB1_606 Depth=4
	s_add_u32 s6, s6, 1
	s_addc_u32 s7, s7, 0
	v_cmp_eq_u32_e64 s4, s6, v4
	s_andn2_b32 s17, s17, exec_lo
	s_andn2_b32 s16, s16, exec_lo
	s_and_b32 s4, s4, exec_lo
	s_or_b32 s17, s17, s4
	s_branch .LBB1_605
.LBB1_608:                              ;   in Loop: Header=BB1_604 Depth=3
	s_inst_prefetch 0x2
	s_or_b32 exec_lo, exec_lo, s15
	s_mov_b32 s6, -1
	s_mov_b32 s4, -1
	s_and_saveexec_b32 s7, s14
	s_xor_b32 s7, exec_lo, s7
; %bb.609:                              ;   in Loop: Header=BB1_604 Depth=3
	v_cmp_ne_u32_e64 s4, v6, v4
	s_orn2_b32 s4, s4, exec_lo
; %bb.610:                              ;   in Loop: Header=BB1_604 Depth=3
	s_or_b32 exec_lo, exec_lo, s7
	s_mov_b32 s7, -1
                                        ; implicit-def: $vgpr0_vgpr1
                                        ; implicit-def: $vgpr6
	s_and_saveexec_b32 s14, s4
	s_cbranch_execz .LBB1_603
; %bb.611:                              ;   in Loop: Header=BB1_604 Depth=3
	v_add_nc_u32_e32 v0, 1, v5
	s_xor_b32 s7, exec_lo, -1
	v_cmp_ne_u32_e64 s4, s54, v0
	v_cndmask_b32_e64 v5, 0, v0, s4
	v_mad_u64_u32 v[0:1], null, v5, 24, v[59:60]
	global_load_dword v6, v[0:1], off offset:8
	s_waitcnt vmcnt(0)
	v_cmp_eq_u32_e64 s4, -1, v6
	s_orn2_b32 s6, s4, exec_lo
	s_branch .LBB1_603
.LBB1_612:                              ;   in Loop: Header=BB1_570 Depth=2
	s_or_b32 exec_lo, exec_lo, s12
	s_orn2_b32 s7, s13, exec_lo
.LBB1_613:                              ;   in Loop: Header=BB1_570 Depth=2
	s_or_b32 exec_lo, exec_lo, s5
	v_mov_b32_e32 v12, 0x52
	s_mov_b32 s4, 0
	s_and_saveexec_b32 s6, s7
	s_cbranch_execz .LBB1_569
; %bb.614:                              ;   in Loop: Header=BB1_570 Depth=2
	global_store_dwordx3 v[0:1], v[2:4], off
	global_store_byte v[0:1], v46, off offset:16
                                        ; implicit-def: $vgpr15
	s_and_saveexec_b32 s4, vcc_lo
	s_xor_b32 s5, exec_lo, s4
	s_cbranch_execz .LBB1_637
; %bb.615:                              ;   in Loop: Header=BB1_570 Depth=2
	v_mov_b32_e32 v0, 0
	s_mov_b32 s4, exec_lo
	v_cmpx_gt_i32_e32 3, v11
	s_cbranch_execz .LBB1_619
; %bb.616:                              ;   in Loop: Header=BB1_570 Depth=2
	v_mov_b32_e32 v0, 0
	s_mov_b32 s7, exec_lo
	v_cmpx_ne_u32_e32 2, v11
	s_cbranch_execz .LBB1_618
; %bb.617:                              ;   in Loop: Header=BB1_570 Depth=2
	global_load_ubyte v0, v[2:3], off offset:2
	s_waitcnt vmcnt(0)
	v_lshlrev_b32_e32 v0, 16, v0
.LBB1_618:                              ;   in Loop: Header=BB1_570 Depth=2
	s_or_b32 exec_lo, exec_lo, s7
	global_load_ubyte v1, v[2:3], off offset:1
	s_waitcnt vmcnt(0)
	v_lshl_or_b32 v0, v1, 8, v0
.LBB1_619:                              ;   in Loop: Header=BB1_570 Depth=2
	s_or_b32 exec_lo, exec_lo, s4
	global_load_ubyte v1, v[2:3], off
	v_sub_nc_u32_e32 v5, 4, v11
	v_lshlrev_b32_e32 v16, 3, v11
	v_add_nc_u32_e32 v14, v4, v11
	v_mov_b32_e32 v13, v8
	s_mov_b32 s7, 0
	v_lshlrev_b32_e32 v17, 3, v5
	s_waitcnt vmcnt(0)
	v_or_b32_e32 v6, v0, v1
	v_add_co_u32 v0, vcc_lo, v2, v5
	v_add_co_ci_u32_e64 v1, null, 0, v3, vcc_lo
	v_lshlrev_b32_e32 v5, v16, v6
	.p2align	6
.LBB1_620:                              ;   Parent Loop BB1_13 Depth=1
                                        ;     Parent Loop BB1_570 Depth=2
                                        ; =>    This Inner Loop Header: Depth=3
	global_load_dword v12, v[0:1], off
	v_lshrrev_b32_e32 v5, v16, v5
	v_mul_lo_u32 v6, 0x5bd1e995, v13
	v_add_nc_u32_e32 v14, -4, v14
	v_add_co_u32 v0, vcc_lo, v0, 4
	v_add_co_ci_u32_e64 v1, null, 0, v1, vcc_lo
	v_cmp_gt_u32_e64 s4, 8, v14
	s_or_b32 s7, s4, s7
	s_waitcnt vmcnt(0)
	v_lshl_or_b32 v5, v12, v17, v5
	v_mul_lo_u32 v5, 0x5bd1e995, v5
	v_xor_b32_sdwa v5, v5, v5 dst_sel:DWORD dst_unused:UNUSED_PAD src0_sel:BYTE_3 src1_sel:DWORD
	v_mul_lo_u32 v13, 0x5bd1e995, v5
	v_mov_b32_e32 v5, v12
	v_xor_b32_e32 v13, v13, v6
	s_andn2_b32 exec_lo, exec_lo, s7
	s_cbranch_execnz .LBB1_620
; %bb.621:                              ;   in Loop: Header=BB1_570 Depth=2
	s_or_b32 exec_lo, exec_lo, s7
	v_add_co_u32 v5, vcc_lo, v0, -4
	v_add_nc_u32_e32 v18, -4, v14
	v_add_co_ci_u32_e64 v6, null, -1, v1, vcc_lo
	s_mov_b32 s4, exec_lo
                                        ; implicit-def: $vgpr15
	v_cmpx_ge_u32_e64 v18, v11
	s_xor_b32 s4, exec_lo, s4
	s_cbranch_execz .LBB1_631
; %bb.622:                              ;   in Loop: Header=BB1_570 Depth=2
	s_mov_b32 s7, 0
	s_mov_b32 s12, exec_lo
                                        ; implicit-def: $vgpr15
	v_cmpx_lt_i32_e32 2, v11
	s_xor_b32 s12, exec_lo, s12
	s_cbranch_execnz .LBB1_676
; %bb.623:                              ;   in Loop: Header=BB1_570 Depth=2
	s_andn2_saveexec_b32 s12, s12
	s_cbranch_execnz .LBB1_677
.LBB1_624:                              ;   in Loop: Header=BB1_570 Depth=2
	s_or_b32 exec_lo, exec_lo, s12
	v_mov_b32_e32 v19, 0
	s_and_saveexec_b32 s12, s7
	s_cbranch_execz .LBB1_626
.LBB1_625:                              ;   in Loop: Header=BB1_570 Depth=2
	global_load_ubyte v19, v[5:6], off offset:5
	s_waitcnt vmcnt(0)
	v_lshl_or_b32 v19, v19, 8, v15
.LBB1_626:                              ;   in Loop: Header=BB1_570 Depth=2
	s_or_b32 exec_lo, exec_lo, s12
	global_load_ubyte v15, v[0:1], off
	v_lshrrev_b32_e32 v16, v16, v12
	v_add_co_u32 v5, vcc_lo, v5, v11
	v_add_co_ci_u32_e64 v6, null, 0, v6, vcc_lo
	s_mov_b32 s7, 0
	s_mov_b32 s12, exec_lo
	s_waitcnt vmcnt(0)
	v_or_b32_e32 v15, v19, v15
	v_lshl_or_b32 v15, v15, v17, v16
	v_mul_lo_u32 v17, 0x5bd1e995, v13
	v_sub_nc_u32_e32 v16, v18, v11
                                        ; implicit-def: $vgpr11
	v_mul_lo_u32 v15, 0x5bd1e995, v15
	v_xor_b32_sdwa v15, v15, v15 dst_sel:DWORD dst_unused:UNUSED_PAD src0_sel:BYTE_3 src1_sel:DWORD
	v_mul_lo_u32 v15, 0x5bd1e995, v15
	v_xor_b32_e32 v15, v15, v17
	v_cmpx_lt_i32_e32 1, v16
	s_xor_b32 s12, exec_lo, s12
	s_cbranch_execnz .LBB1_678
; %bb.627:                              ;   in Loop: Header=BB1_570 Depth=2
	s_andn2_saveexec_b32 s12, s12
	s_cbranch_execnz .LBB1_681
.LBB1_628:                              ;   in Loop: Header=BB1_570 Depth=2
	s_or_b32 exec_lo, exec_lo, s12
	s_and_saveexec_b32 s12, s7
	s_cbranch_execz .LBB1_630
.LBB1_629:                              ;   in Loop: Header=BB1_570 Depth=2
	global_load_ubyte v5, v[5:6], off offset:4
	s_waitcnt vmcnt(0)
	v_xor_b32_e32 v5, v11, v5
	v_mul_lo_u32 v15, 0x5bd1e995, v5
.LBB1_630:                              ;   in Loop: Header=BB1_570 Depth=2
	s_or_b32 exec_lo, exec_lo, s12
                                        ; implicit-def: $vgpr16
                                        ; implicit-def: $vgpr17
                                        ; implicit-def: $vgpr5_vgpr6
.LBB1_631:                              ;   in Loop: Header=BB1_570 Depth=2
	s_andn2_saveexec_b32 s4, s4
	s_cbranch_execz .LBB1_671
; %bb.632:                              ;   in Loop: Header=BB1_570 Depth=2
	s_mov_b32 s7, 0
	s_mov_b32 s12, exec_lo
                                        ; implicit-def: $vgpr11
	v_cmpx_lt_i32_e32 5, v14
	s_xor_b32 s12, exec_lo, s12
	s_cbranch_execnz .LBB1_682
; %bb.633:                              ;   in Loop: Header=BB1_570 Depth=2
	s_andn2_saveexec_b32 s12, s12
	s_cbranch_execnz .LBB1_683
.LBB1_634:                              ;   in Loop: Header=BB1_570 Depth=2
	s_or_b32 exec_lo, exec_lo, s12
	v_mov_b32_e32 v5, 0
	s_and_saveexec_b32 s12, s7
	s_cbranch_execz .LBB1_636
.LBB1_635:                              ;   in Loop: Header=BB1_570 Depth=2
	global_load_ubyte v0, v[0:1], off
	s_waitcnt vmcnt(0)
	v_or_b32_e32 v5, v11, v0
.LBB1_636:                              ;   in Loop: Header=BB1_570 Depth=2
	s_or_b32 exec_lo, exec_lo, s12
	v_lshrrev_b32_e32 v0, v16, v12
	v_lshl_or_b32 v0, v5, v17, v0
	v_xor_b32_e32 v0, v0, v13
	v_mul_lo_u32 v15, 0x5bd1e995, v0
	s_or_b32 exec_lo, exec_lo, s4
.LBB1_637:                              ;   in Loop: Header=BB1_570 Depth=2
	s_andn2_saveexec_b32 s5, s5
	s_cbranch_execz .LBB1_645
.LBB1_638:                              ;   in Loop: Header=BB1_570 Depth=2
	v_mov_b32_e32 v0, v2
	v_mov_b32_e32 v5, v9
	;; [unrolled: 1-line block ×4, first 2 shown]
	s_mov_b32 s7, 0
	.p2align	6
.LBB1_639:                              ;   Parent Loop BB1_13 Depth=1
                                        ;     Parent Loop BB1_570 Depth=2
                                        ; =>    This Inner Loop Header: Depth=3
	global_load_dword v6, v[0:1], off
	v_mul_lo_u32 v11, 0x5bd1e995, v15
	v_add_nc_u32_e32 v5, -4, v5
	v_add_co_u32 v0, vcc_lo, v0, 4
	v_add_co_ci_u32_e64 v1, null, 0, v1, vcc_lo
	v_cmp_gt_u32_e64 s4, 8, v5
	s_or_b32 s7, s4, s7
	s_waitcnt vmcnt(0)
	v_mul_lo_u32 v6, 0x5bd1e995, v6
	v_xor_b32_sdwa v6, v6, v6 dst_sel:DWORD dst_unused:UNUSED_PAD src0_sel:BYTE_3 src1_sel:DWORD
	v_mul_lo_u32 v6, 0x5bd1e995, v6
	v_xor_b32_e32 v15, v6, v11
	s_andn2_b32 exec_lo, exec_lo, s7
	s_cbranch_execnz .LBB1_639
; %bb.640:                              ;   in Loop: Header=BB1_570 Depth=2
	s_or_b32 exec_lo, exec_lo, s7
	s_mov_b32 s4, 0
	s_mov_b32 s7, exec_lo
                                        ; implicit-def: $vgpr6
	v_cmpx_lt_i32_e32 5, v5
	s_xor_b32 s7, exec_lo, s7
	s_cbranch_execnz .LBB1_672
; %bb.641:                              ;   in Loop: Header=BB1_570 Depth=2
	s_andn2_saveexec_b32 s7, s7
	s_cbranch_execnz .LBB1_675
.LBB1_642:                              ;   in Loop: Header=BB1_570 Depth=2
	s_or_b32 exec_lo, exec_lo, s7
	s_and_saveexec_b32 s7, s4
	s_cbranch_execz .LBB1_644
.LBB1_643:                              ;   in Loop: Header=BB1_570 Depth=2
	global_load_ubyte v0, v[0:1], off
	s_waitcnt vmcnt(0)
	v_xor_b32_e32 v0, v6, v0
	v_mul_lo_u32 v15, 0x5bd1e995, v0
.LBB1_644:                              ;   in Loop: Header=BB1_570 Depth=2
	s_or_b32 exec_lo, exec_lo, s7
.LBB1_645:                              ;   in Loop: Header=BB1_570 Depth=2
	s_or_b32 exec_lo, exec_lo, s5
	v_lshrrev_b32_e32 v0, 13, v15
	v_mov_b32_e32 v12, 0x58
	s_mov_b32 s4, 0
	s_mov_b32 s7, exec_lo
	v_xor_b32_e32 v0, v0, v15
	v_mul_lo_u32 v0, 0x5bd1e995, v0
	v_lshrrev_b32_e32 v1, 15, v0
	v_xor_b32_e32 v0, v1, v0
	v_mul_hi_u32 v1, v0, v81
	v_mul_lo_u32 v1, v1, v42
	v_sub_nc_u32_e32 v0, v0, v1
	v_sub_nc_u32_e32 v1, v0, v42
	v_cmp_ge_u32_e32 vcc_lo, v0, v42
	v_cndmask_b32_e32 v0, v0, v1, vcc_lo
	v_sub_nc_u32_e32 v1, v0, v42
	v_cmp_ge_u32_e32 vcc_lo, v0, v42
	v_cndmask_b32_e32 v11, v0, v1, vcc_lo
	v_mad_u64_u32 v[5:6], null, v11, 56, v[40:41]
	global_load_dword v13, v[5:6], off offset:8
	s_waitcnt vmcnt(0)
	v_cmpx_ne_u32_e32 -1, v13
	s_cbranch_execz .LBB1_568
; %bb.646:                              ;   in Loop: Header=BB1_570 Depth=2
	s_mov_b32 s13, 0
                                        ; implicit-def: $sgpr12
                                        ; implicit-def: $sgpr14
	s_branch .LBB1_648
.LBB1_647:                              ;   in Loop: Header=BB1_648 Depth=3
	s_or_b32 exec_lo, exec_lo, s5
	s_and_b32 s4, exec_lo, s4
	s_or_b32 s13, s4, s13
	s_andn2_b32 s4, s12, exec_lo
	s_and_b32 s5, s14, exec_lo
	s_or_b32 s12, s4, s5
	s_andn2_b32 exec_lo, exec_lo, s13
	s_cbranch_execz .LBB1_661
.LBB1_648:                              ;   Parent Loop BB1_13 Depth=1
                                        ;     Parent Loop BB1_570 Depth=2
                                        ; =>    This Loop Header: Depth=3
                                        ;         Child Loop BB1_650 Depth 4
	v_mov_b32_e32 v0, v5
	v_mov_b32_e32 v1, v6
	global_load_dwordx2 v[5:6], v[5:6], off
	s_mov_b64 s[4:5], 0
	s_mov_b32 s16, 0
                                        ; implicit-def: $sgpr15
                                        ; implicit-def: $sgpr18
                                        ; implicit-def: $sgpr17
	s_inst_prefetch 0x1
	s_branch .LBB1_650
	.p2align	6
.LBB1_649:                              ;   in Loop: Header=BB1_650 Depth=4
	s_or_b32 exec_lo, exec_lo, s19
	s_xor_b32 s19, s17, -1
	s_and_b32 s20, exec_lo, s18
	s_or_b32 s16, s20, s16
	s_andn2_b32 s15, s15, exec_lo
	s_and_b32 s19, s19, exec_lo
	s_or_b32 s15, s15, s19
	s_andn2_b32 exec_lo, exec_lo, s16
	s_cbranch_execz .LBB1_652
.LBB1_650:                              ;   Parent Loop BB1_13 Depth=1
                                        ;     Parent Loop BB1_570 Depth=2
                                        ;       Parent Loop BB1_648 Depth=3
                                        ; =>      This Inner Loop Header: Depth=4
	s_waitcnt vmcnt(0)
	v_add_co_u32 v14, vcc_lo, v5, s4
	v_add_co_ci_u32_e64 v15, null, s5, v6, vcc_lo
	v_add_co_u32 v16, vcc_lo, v2, s4
	v_add_co_ci_u32_e64 v17, null, s5, v3, vcc_lo
	flat_load_ubyte v12, v[14:15]
	global_load_ubyte v14, v[16:17], off
	s_or_b32 s17, s17, exec_lo
	s_or_b32 s18, s18, exec_lo
	s_mov_b32 s19, exec_lo
	s_waitcnt vmcnt(0) lgkmcnt(0)
	v_cmpx_eq_u16_e64 v12, v14
	s_cbranch_execz .LBB1_649
; %bb.651:                              ;   in Loop: Header=BB1_650 Depth=4
	s_add_u32 s4, s4, 1
	s_addc_u32 s5, s5, 0
	v_cmp_eq_u32_e32 vcc_lo, s4, v4
	s_andn2_b32 s18, s18, exec_lo
	s_andn2_b32 s17, s17, exec_lo
	s_and_b32 s20, vcc_lo, exec_lo
	s_or_b32 s18, s18, s20
	s_branch .LBB1_649
.LBB1_652:                              ;   in Loop: Header=BB1_648 Depth=3
	s_inst_prefetch 0x2
	s_or_b32 exec_lo, exec_lo, s16
	s_mov_b32 s4, -1
	s_mov_b32 s16, -1
	s_and_saveexec_b32 s5, s15
	s_xor_b32 s5, exec_lo, s5
; %bb.653:                              ;   in Loop: Header=BB1_648 Depth=3
	v_cmp_ne_u32_e32 vcc_lo, v13, v4
	s_orn2_b32 s16, vcc_lo, exec_lo
; %bb.654:                              ;   in Loop: Header=BB1_648 Depth=3
	s_or_b32 exec_lo, exec_lo, s5
	s_or_b32 s14, s14, exec_lo
                                        ; implicit-def: $vgpr5_vgpr6
                                        ; implicit-def: $vgpr13
	s_and_saveexec_b32 s5, s16
	s_cbranch_execz .LBB1_647
; %bb.655:                              ;   in Loop: Header=BB1_648 Depth=3
	v_add_nc_u32_e32 v5, 1, v11
	s_andn2_b32 s14, s14, exec_lo
	v_cmp_ne_u32_e32 vcc_lo, v5, v42
	v_cndmask_b32_e32 v11, 0, v5, vcc_lo
	v_mad_u64_u32 v[5:6], null, v11, 56, v[40:41]
	global_load_dword v13, v[5:6], off offset:8
	s_waitcnt vmcnt(0)
	v_cmp_eq_u32_e32 vcc_lo, -1, v13
	s_orn2_b32 s4, vcc_lo, exec_lo
	s_branch .LBB1_647
.LBB1_656:                              ;   in Loop: Header=BB1_570 Depth=2
	s_or_b32 exec_lo, exec_lo, s5
	s_andn2_saveexec_b32 s6, s6
	s_cbranch_execnz .LBB1_594
	s_branch .LBB1_601
.LBB1_657:                              ;   in Loop: Header=BB1_570 Depth=2
	v_mov_b32_e32 v6, v15
	s_mov_b32 s5, exec_lo
	v_cmpx_lt_i32_e32 6, v5
	s_cbranch_execz .LBB1_659
; %bb.658:                              ;   in Loop: Header=BB1_570 Depth=2
	global_load_ubyte v6, v[0:1], off offset:2
	s_waitcnt vmcnt(0)
	v_lshlrev_b32_e32 v6, 16, v6
	v_xor_b32_e32 v6, v6, v15
.LBB1_659:                              ;   in Loop: Header=BB1_570 Depth=2
	s_or_b32 exec_lo, exec_lo, s5
	global_load_ubyte v12, v[0:1], off offset:1
	s_mov_b32 s5, exec_lo
	s_waitcnt vmcnt(0)
	v_lshlrev_b32_e32 v12, 8, v12
	v_xor_b32_e32 v6, v12, v6
	s_andn2_saveexec_b32 s7, s7
	s_cbranch_execz .LBB1_598
.LBB1_660:                              ;   in Loop: Header=BB1_570 Depth=2
	v_cmp_eq_u32_e64 s4, 5, v5
	v_mov_b32_e32 v6, v15
	s_andn2_b32 s5, s5, exec_lo
	s_and_b32 s4, s4, exec_lo
	s_or_b32 s5, s5, s4
	s_or_b32 exec_lo, exec_lo, s7
	s_and_saveexec_b32 s4, s5
	s_cbranch_execnz .LBB1_599
	s_branch .LBB1_600
.LBB1_661:                              ;   in Loop: Header=BB1_570 Depth=2
	s_or_b32 exec_lo, exec_lo, s13
	v_mov_b32_e32 v12, 0x58
	s_mov_b32 s4, 0
	s_and_saveexec_b32 s5, s12
	s_xor_b32 s12, exec_lo, s5
	s_cbranch_execz .LBB1_567
; %bb.662:                              ;   in Loop: Header=BB1_570 Depth=2
	global_load_ubyte v12, v[0:1], off offset:48
	s_mov_b32 s13, 0
	s_mov_b32 s14, exec_lo
	s_waitcnt vmcnt(0)
	v_cmp_ne_u16_e64 s4, 0x58, v12
	v_cmp_ne_u16_e32 vcc_lo, 0x46, v12
	v_cmpx_lt_i16_e32 0x57, v12
	s_xor_b32 s14, exec_lo, s14
	s_cbranch_execnz .LBB1_684
; %bb.663:                              ;   in Loop: Header=BB1_570 Depth=2
	s_andn2_saveexec_b32 s14, s14
	s_cbranch_execnz .LBB1_685
.LBB1_664:                              ;   in Loop: Header=BB1_570 Depth=2
	s_or_b32 exec_lo, exec_lo, s14
	s_and_saveexec_b32 s14, s13
	s_cbranch_execz .LBB1_566
	s_branch .LBB1_686
.LBB1_665:                              ;   in Loop: Header=BB1_570 Depth=2
	global_load_ubyte v15, v[5:6], off offset:6
	s_mov_b32 s7, exec_lo
	s_waitcnt vmcnt(0)
	v_lshlrev_b32_e32 v15, 16, v15
	s_andn2_saveexec_b32 s12, s4
	s_cbranch_execz .LBB1_580
.LBB1_666:                              ;   in Loop: Header=BB1_570 Depth=2
	v_cmp_eq_u32_e64 s4, 2, v11
	v_mov_b32_e32 v15, 0
	s_andn2_b32 s7, s7, exec_lo
	s_and_b32 s4, s4, exec_lo
	s_or_b32 s7, s7, s4
	s_or_b32 exec_lo, exec_lo, s12
	v_mov_b32_e32 v19, 0
	s_and_saveexec_b32 s4, s7
	s_cbranch_execnz .LBB1_581
	s_branch .LBB1_582
.LBB1_667:                              ;   in Loop: Header=BB1_570 Depth=2
	global_load_ubyte v16, v[5:6], off offset:5
	s_mov_b32 s7, exec_lo
                                        ; implicit-def: $vgpr17
	s_waitcnt vmcnt(0)
	v_lshlrev_b32_e32 v16, 8, v16
	v_xor_b32_e32 v16, v16, v15
	s_andn2_saveexec_b32 s12, s4
	s_cbranch_execz .LBB1_584
.LBB1_668:                              ;   in Loop: Header=BB1_570 Depth=2
	v_cmp_eq_u32_e64 s4, 1, v17
	v_mov_b32_e32 v16, v15
	s_andn2_b32 s7, s7, exec_lo
	s_and_b32 s4, s4, exec_lo
	s_or_b32 s7, s7, s4
	s_or_b32 exec_lo, exec_lo, s12
	s_and_saveexec_b32 s4, s7
	s_cbranch_execnz .LBB1_585
	s_branch .LBB1_586
.LBB1_669:                              ;   in Loop: Header=BB1_570 Depth=2
	global_load_ubyte v5, v[5:6], off offset:5
	s_mov_b32 s7, exec_lo
	s_waitcnt vmcnt(0)
	v_lshlrev_b32_e32 v15, 8, v5
	s_andn2_saveexec_b32 s12, s4
	s_cbranch_execz .LBB1_590
.LBB1_670:                              ;   in Loop: Header=BB1_570 Depth=2
	v_cmp_eq_u32_e64 s4, 5, v14
	v_mov_b32_e32 v15, 0
	s_andn2_b32 s7, s7, exec_lo
	s_and_b32 s4, s4, exec_lo
	s_or_b32 s7, s7, s4
	s_or_b32 exec_lo, exec_lo, s12
	v_mov_b32_e32 v5, 0
	s_and_saveexec_b32 s4, s7
	s_cbranch_execnz .LBB1_591
	s_branch .LBB1_592
.LBB1_671:                              ;   in Loop: Header=BB1_570 Depth=2
	s_or_b32 exec_lo, exec_lo, s4
	s_andn2_saveexec_b32 s5, s5
	s_cbranch_execnz .LBB1_638
	s_branch .LBB1_645
.LBB1_672:                              ;   in Loop: Header=BB1_570 Depth=2
	v_mov_b32_e32 v6, v15
	s_mov_b32 s4, exec_lo
	v_cmpx_lt_i32_e32 6, v5
	s_cbranch_execz .LBB1_674
; %bb.673:                              ;   in Loop: Header=BB1_570 Depth=2
	global_load_ubyte v6, v[0:1], off offset:2
	s_waitcnt vmcnt(0)
	v_lshlrev_b32_e32 v6, 16, v6
	v_xor_b32_e32 v6, v6, v15
.LBB1_674:                              ;   in Loop: Header=BB1_570 Depth=2
	s_or_b32 exec_lo, exec_lo, s4
	global_load_ubyte v11, v[0:1], off offset:1
	s_mov_b32 s4, exec_lo
	s_waitcnt vmcnt(0)
	v_lshlrev_b32_e32 v11, 8, v11
	v_xor_b32_e32 v6, v11, v6
	s_andn2_saveexec_b32 s7, s7
	s_cbranch_execz .LBB1_642
.LBB1_675:                              ;   in Loop: Header=BB1_570 Depth=2
	v_cmp_eq_u32_e32 vcc_lo, 5, v5
	v_mov_b32_e32 v6, v15
	s_andn2_b32 s4, s4, exec_lo
	s_and_b32 s12, vcc_lo, exec_lo
	s_or_b32 s4, s4, s12
	s_or_b32 exec_lo, exec_lo, s7
	s_and_saveexec_b32 s7, s4
	s_cbranch_execnz .LBB1_643
	s_branch .LBB1_644
.LBB1_676:                              ;   in Loop: Header=BB1_570 Depth=2
	global_load_ubyte v15, v[5:6], off offset:6
	s_mov_b32 s7, exec_lo
	s_waitcnt vmcnt(0)
	v_lshlrev_b32_e32 v15, 16, v15
	s_andn2_saveexec_b32 s12, s12
	s_cbranch_execz .LBB1_624
.LBB1_677:                              ;   in Loop: Header=BB1_570 Depth=2
	v_cmp_eq_u32_e32 vcc_lo, 2, v11
	v_mov_b32_e32 v15, 0
	s_andn2_b32 s7, s7, exec_lo
	s_and_b32 s13, vcc_lo, exec_lo
	s_or_b32 s7, s7, s13
	s_or_b32 exec_lo, exec_lo, s12
	v_mov_b32_e32 v19, 0
	s_and_saveexec_b32 s12, s7
	s_cbranch_execnz .LBB1_625
	s_branch .LBB1_626
.LBB1_678:                              ;   in Loop: Header=BB1_570 Depth=2
	s_mov_b32 s13, exec_lo
                                        ; implicit-def: $vgpr11
	v_cmpx_eq_u32_e32 2, v16
	s_cbranch_execz .LBB1_680
; %bb.679:                              ;   in Loop: Header=BB1_570 Depth=2
	global_load_ubyte v11, v[5:6], off offset:5
	s_mov_b32 s7, exec_lo
	s_waitcnt vmcnt(0)
	v_lshlrev_b32_e32 v11, 8, v11
	v_xor_b32_e32 v11, v11, v15
.LBB1_680:                              ;   in Loop: Header=BB1_570 Depth=2
	s_or_b32 exec_lo, exec_lo, s13
	s_and_b32 s7, s7, exec_lo
                                        ; implicit-def: $vgpr16
	s_andn2_saveexec_b32 s12, s12
	s_cbranch_execz .LBB1_628
.LBB1_681:                              ;   in Loop: Header=BB1_570 Depth=2
	v_cmp_eq_u32_e32 vcc_lo, 1, v16
	v_mov_b32_e32 v11, v15
	s_andn2_b32 s7, s7, exec_lo
	s_and_b32 s13, vcc_lo, exec_lo
	s_or_b32 s7, s7, s13
	s_or_b32 exec_lo, exec_lo, s12
	s_and_saveexec_b32 s12, s7
	s_cbranch_execnz .LBB1_629
	s_branch .LBB1_630
.LBB1_682:                              ;   in Loop: Header=BB1_570 Depth=2
	global_load_ubyte v5, v[5:6], off offset:5
	s_mov_b32 s7, exec_lo
	s_waitcnt vmcnt(0)
	v_lshlrev_b32_e32 v11, 8, v5
	s_andn2_saveexec_b32 s12, s12
	s_cbranch_execz .LBB1_634
.LBB1_683:                              ;   in Loop: Header=BB1_570 Depth=2
	v_cmp_eq_u32_e32 vcc_lo, 5, v14
	v_mov_b32_e32 v11, 0
	s_andn2_b32 s7, s7, exec_lo
	s_and_b32 s13, vcc_lo, exec_lo
	s_or_b32 s7, s7, s13
	s_or_b32 exec_lo, exec_lo, s12
	v_mov_b32_e32 v5, 0
	s_and_saveexec_b32 s12, s7
	s_cbranch_execnz .LBB1_635
	s_branch .LBB1_636
.LBB1_684:                              ;   in Loop: Header=BB1_570 Depth=2
	v_cmp_ne_u16_e64 s5, 0x58, v12
	s_and_b32 s13, s5, exec_lo
	s_andn2_saveexec_b32 s14, s14
	s_cbranch_execz .LBB1_664
.LBB1_685:                              ;   in Loop: Header=BB1_570 Depth=2
	v_cmp_ne_u16_e64 s5, 0x46, v12
	s_andn2_b32 s13, s13, exec_lo
	s_and_b32 s5, s5, exec_lo
	s_or_b32 s13, s13, s5
	s_or_b32 exec_lo, exec_lo, s14
	s_and_saveexec_b32 s14, s13
	s_cbranch_execz .LBB1_566
.LBB1_686:                              ;   in Loop: Header=BB1_570 Depth=2
	v_add_co_u32 v0, s5, v2, v4
	v_add_co_ci_u32_e64 v1, null, 0, v3, s5
	v_add_co_u32 v2, s5, v2, 1
	v_add_co_ci_u32_e64 v3, null, 0, v3, s5
	v_cmp_ne_u16_e64 s5, 0, v12
	global_store_byte v[0:1], v12, off
	v_mov_b32_e32 v12, v10
	v_add_co_ci_u32_e64 v7, null, 0, v7, s5
	s_branch .LBB1_566
.LBB1_687:                              ;   in Loop: Header=BB1_13 Depth=1
	s_or_b32 exec_lo, exec_lo, s10
	v_cmp_eq_u16_sdwa s5, v12, v84 src0_sel:BYTE_0 src1_sel:DWORD
	s_mov_b32 s10, exec_lo
	v_cmpx_gt_i32_e64 v7, v87
	s_cbranch_execnz .LBB1_689
	s_branch .LBB1_693
.LBB1_688:                              ;   in Loop: Header=BB1_13 Depth=1
	v_mov_b32_e32 v7, 0
	s_mov_b32 s5, -1
	s_mov_b32 s10, exec_lo
	v_cmpx_gt_i32_e64 v7, v87
	s_cbranch_execz .LBB1_693
.LBB1_689:                              ;   in Loop: Header=BB1_13 Depth=1
	s_mov_b32 s11, exec_lo
	v_cmpx_lt_i32_e32 0, v7
	s_cbranch_execz .LBB1_692
; %bb.690:                              ;   in Loop: Header=BB1_13 Depth=1
	v_add_co_u32 v0, vcc_lo, v61, v4
	v_add_co_ci_u32_e64 v1, null, 0, v62, vcc_lo
	s_mov_b64 s[6:7], 0
	s_mov_b32 s12, 0
	.p2align	6
.LBB1_691:                              ;   Parent Loop BB1_13 Depth=1
                                        ; =>  This Inner Loop Header: Depth=2
	v_add_co_u32 v2, vcc_lo, v0, s6
	v_add_co_ci_u32_e64 v3, null, s7, v1, vcc_lo
	global_load_ubyte v5, v[2:3], off
	v_add_co_u32 v2, vcc_lo, v65, s6
	s_add_u32 s6, s6, 1
	v_add_co_ci_u32_e64 v3, null, s7, v66, vcc_lo
	v_cmp_eq_u32_e64 s4, s6, v7
	s_addc_u32 s7, s7, 0
	s_or_b32 s12, s4, s12
	s_waitcnt vmcnt(0)
	global_store_byte v[2:3], v5, off
	s_andn2_b32 exec_lo, exec_lo, s12
	s_cbranch_execnz .LBB1_691
.LBB1_692:                              ;   in Loop: Header=BB1_13 Depth=1
	s_or_b32 exec_lo, exec_lo, s11
	v_mov_b32_e32 v87, v7
.LBB1_693:                              ;   in Loop: Header=BB1_13 Depth=1
	s_or_b32 exec_lo, exec_lo, s10
	s_xor_b32 s5, s5, -1
	s_mov_b32 s4, 0
	s_and_saveexec_b32 s6, s5
	s_xor_b32 s5, exec_lo, s6
; %bb.694:                              ;   in Loop: Header=BB1_13 Depth=1
	v_cmp_ne_u32_e32 vcc_lo, -8, v85
                                        ; implicit-def: $vgpr85
	s_and_b32 s4, vcc_lo, exec_lo
; %bb.695:                              ;   in Loop: Header=BB1_13 Depth=1
	s_or_saveexec_b32 s5, s5
	v_mov_b32_e32 v3, -8
	v_mov_b32_e32 v1, 8
	s_xor_b32 exec_lo, exec_lo, s5
; %bb.696:                              ;   in Loop: Header=BB1_13 Depth=1
	v_cmp_ne_u32_e32 vcc_lo, 8, v85
	v_mov_b32_e32 v3, 8
	v_mov_b32_e32 v1, -8
	s_andn2_b32 s4, s4, exec_lo
	s_and_b32 s6, vcc_lo, exec_lo
	s_or_b32 s4, s4, s6
; %bb.697:                              ;   in Loop: Header=BB1_13 Depth=1
	s_or_b32 exec_lo, exec_lo, s5
	v_mov_b32_e32 v2, 11
	v_mov_b32_e32 v0, 0
	;; [unrolled: 1-line block ×3, first 2 shown]
	s_and_saveexec_b32 s5, s4
; %bb.698:                              ;   in Loop: Header=BB1_13 Depth=1
	v_mov_b32_e32 v2, 0
	v_mov_b32_e32 v0, v86
	v_mov_b32_e32 v85, v1
; %bb.699:                              ;   in Loop: Header=BB1_13 Depth=1
	s_or_b32 exec_lo, exec_lo, s5
	s_mov_b32 s4, -1
	s_mov_b32 s5, exec_lo
	v_cmpx_gt_i32_e32 11, v2
; %bb.700:                              ;   in Loop: Header=BB1_13 Depth=1
	v_cmp_eq_u32_e32 vcc_lo, 0, v2
	s_orn2_b32 s4, vcc_lo, exec_lo
; %bb.701:                              ;   in Loop: Header=BB1_13 Depth=1
	s_or_b32 exec_lo, exec_lo, s5
	v_mov_b32_e32 v86, v0
	s_orn2_b32 s4, s4, exec_lo
.LBB1_702:                              ;   in Loop: Header=BB1_13 Depth=1
	s_or_b32 exec_lo, exec_lo, s9
	s_and_saveexec_b32 s5, s4
	s_cbranch_execz .LBB1_12
; %bb.703:                              ;   in Loop: Header=BB1_13 Depth=1
	ds_bpermute_b32 v86, v44, v86
	s_mov_b32 s4, -1
	s_mov_b32 s6, exec_lo
	s_waitcnt lgkmcnt(0)
	v_cmpx_ne_u32_e32 0, v86
	s_cbranch_execz .LBB1_11
; %bb.704:                              ;   in Loop: Header=BB1_13 Depth=1
	ds_bpermute_b32 v85, v44, v85
	s_waitcnt lgkmcnt(0)
	v_add_nc_u32_e32 v4, v85, v4
	v_cmp_gt_i32_e32 vcc_lo, 21, v4
	v_cmp_gt_i32_e64 s4, v4, v79
	s_or_b32 s4, vcc_lo, s4
	s_orn2_b32 s4, s4, exec_lo
	s_branch .LBB1_11
.LBB1_705:
	s_or_b32 exec_lo, exec_lo, s62
	v_max_i32_e32 v0, 0, v87
.LBB1_706:
	s_or_b32 exec_lo, exec_lo, s48
	v_cmp_eq_u32_e32 vcc_lo, 0, v67
	s_and_b32 exec_lo, exec_lo, vcc_lo
	s_cbranch_execz .LBB1_708
; %bb.707:
	global_store_dword v47, v0, s[56:57]
.LBB1_708:
	s_endpgm
	.section	.rodata,"a",@progbits
	.p2align	6, 0x0
	.amdhsa_kernel _Z22iterative_walks_kernelILi32EEvPjS0_PcS1_S1_S0_S0_PdP6loc_htS0_P11loc_ht_boolijS0_llliijS1_S1_S0_i
		.amdhsa_group_segment_fixed_size 0
		.amdhsa_private_segment_fixed_size 96
		.amdhsa_kernarg_size 432
		.amdhsa_user_sgpr_count 6
		.amdhsa_user_sgpr_private_segment_buffer 1
		.amdhsa_user_sgpr_dispatch_ptr 0
		.amdhsa_user_sgpr_queue_ptr 0
		.amdhsa_user_sgpr_kernarg_segment_ptr 1
		.amdhsa_user_sgpr_dispatch_id 0
		.amdhsa_user_sgpr_flat_scratch_init 0
		.amdhsa_user_sgpr_private_segment_size 0
		.amdhsa_wavefront_size32 1
		.amdhsa_uses_dynamic_stack 0
		.amdhsa_system_sgpr_private_segment_wavefront_offset 1
		.amdhsa_system_sgpr_workgroup_id_x 1
		.amdhsa_system_sgpr_workgroup_id_y 0
		.amdhsa_system_sgpr_workgroup_id_z 0
		.amdhsa_system_sgpr_workgroup_info 0
		.amdhsa_system_vgpr_workitem_id 0
		.amdhsa_next_free_vgpr 96
		.amdhsa_next_free_sgpr 69
		.amdhsa_reserve_vcc 1
		.amdhsa_reserve_flat_scratch 0
		.amdhsa_float_round_mode_32 0
		.amdhsa_float_round_mode_16_64 0
		.amdhsa_float_denorm_mode_32 3
		.amdhsa_float_denorm_mode_16_64 3
		.amdhsa_dx10_clamp 1
		.amdhsa_ieee_mode 1
		.amdhsa_fp16_overflow 0
		.amdhsa_workgroup_processor_mode 1
		.amdhsa_memory_ordered 1
		.amdhsa_forward_progress 1
		.amdhsa_shared_vgpr_count 0
		.amdhsa_exception_fp_ieee_invalid_op 0
		.amdhsa_exception_fp_denorm_src 0
		.amdhsa_exception_fp_ieee_div_zero 0
		.amdhsa_exception_fp_ieee_overflow 0
		.amdhsa_exception_fp_ieee_underflow 0
		.amdhsa_exception_fp_ieee_inexact 0
		.amdhsa_exception_int_div_zero 0
	.end_amdhsa_kernel
	.section	.text._Z22iterative_walks_kernelILi32EEvPjS0_PcS1_S1_S0_S0_PdP6loc_htS0_P11loc_ht_boolijS0_llliijS1_S1_S0_i,"axG",@progbits,_Z22iterative_walks_kernelILi32EEvPjS0_PcS1_S1_S0_S0_PdP6loc_htS0_P11loc_ht_boolijS0_llliijS1_S1_S0_i,comdat
.Lfunc_end1:
	.size	_Z22iterative_walks_kernelILi32EEvPjS0_PcS1_S1_S0_S0_PdP6loc_htS0_P11loc_ht_boolijS0_llliijS1_S1_S0_i, .Lfunc_end1-_Z22iterative_walks_kernelILi32EEvPjS0_PcS1_S1_S0_S0_PdP6loc_htS0_P11loc_ht_boolijS0_llliijS1_S1_S0_i
                                        ; -- End function
	.set _Z22iterative_walks_kernelILi32EEvPjS0_PcS1_S1_S0_S0_PdP6loc_htS0_P11loc_ht_boolijS0_llliijS1_S1_S0_i.num_vgpr, max(96, .L_Z13ht_get_atomicP6loc_ht9cstr_typej.num_vgpr)
	.set _Z22iterative_walks_kernelILi32EEvPjS0_PcS1_S1_S0_S0_PdP6loc_htS0_P11loc_ht_boolijS0_llliijS1_S1_S0_i.num_agpr, max(0, .L_Z13ht_get_atomicP6loc_ht9cstr_typej.num_agpr)
	.set _Z22iterative_walks_kernelILi32EEvPjS0_PcS1_S1_S0_S0_PdP6loc_htS0_P11loc_ht_boolijS0_llliijS1_S1_S0_i.numbered_sgpr, max(69, .L_Z13ht_get_atomicP6loc_ht9cstr_typej.numbered_sgpr)
	.set _Z22iterative_walks_kernelILi32EEvPjS0_PcS1_S1_S0_S0_PdP6loc_htS0_P11loc_ht_boolijS0_llliijS1_S1_S0_i.num_named_barrier, max(0, .L_Z13ht_get_atomicP6loc_ht9cstr_typej.num_named_barrier)
	.set _Z22iterative_walks_kernelILi32EEvPjS0_PcS1_S1_S0_S0_PdP6loc_htS0_P11loc_ht_boolijS0_llliijS1_S1_S0_i.private_seg_size, 96+max(.L_Z13ht_get_atomicP6loc_ht9cstr_typej.private_seg_size)
	.set _Z22iterative_walks_kernelILi32EEvPjS0_PcS1_S1_S0_S0_PdP6loc_htS0_P11loc_ht_boolijS0_llliijS1_S1_S0_i.uses_vcc, or(1, .L_Z13ht_get_atomicP6loc_ht9cstr_typej.uses_vcc)
	.set _Z22iterative_walks_kernelILi32EEvPjS0_PcS1_S1_S0_S0_PdP6loc_htS0_P11loc_ht_boolijS0_llliijS1_S1_S0_i.uses_flat_scratch, or(0, .L_Z13ht_get_atomicP6loc_ht9cstr_typej.uses_flat_scratch)
	.set _Z22iterative_walks_kernelILi32EEvPjS0_PcS1_S1_S0_S0_PdP6loc_htS0_P11loc_ht_boolijS0_llliijS1_S1_S0_i.has_dyn_sized_stack, or(0, .L_Z13ht_get_atomicP6loc_ht9cstr_typej.has_dyn_sized_stack)
	.set _Z22iterative_walks_kernelILi32EEvPjS0_PcS1_S1_S0_S0_PdP6loc_htS0_P11loc_ht_boolijS0_llliijS1_S1_S0_i.has_recursion, or(0, .L_Z13ht_get_atomicP6loc_ht9cstr_typej.has_recursion)
	.set _Z22iterative_walks_kernelILi32EEvPjS0_PcS1_S1_S0_S0_PdP6loc_htS0_P11loc_ht_boolijS0_llliijS1_S1_S0_i.has_indirect_call, or(0, .L_Z13ht_get_atomicP6loc_ht9cstr_typej.has_indirect_call)
	.section	.AMDGPU.csdata,"",@progbits
; Kernel info:
; codeLenInByte = 23252
; TotalNumSgprs: 71
; NumVgprs: 96
; ScratchSize: 96
; MemoryBound: 0
; FloatMode: 240
; IeeeMode: 1
; LDSByteSize: 0 bytes/workgroup (compile time only)
; SGPRBlocks: 0
; VGPRBlocks: 11
; NumSGPRsForWavesPerEU: 71
; NumVGPRsForWavesPerEU: 96
; Occupancy: 10
; WaveLimiterHint : 1
; COMPUTE_PGM_RSRC2:SCRATCH_EN: 1
; COMPUTE_PGM_RSRC2:USER_SGPR: 6
; COMPUTE_PGM_RSRC2:TRAP_HANDLER: 0
; COMPUTE_PGM_RSRC2:TGID_X_EN: 1
; COMPUTE_PGM_RSRC2:TGID_Y_EN: 0
; COMPUTE_PGM_RSRC2:TGID_Z_EN: 0
; COMPUTE_PGM_RSRC2:TIDIG_COMP_CNT: 0
	.section	.text._Z22iterative_walks_kernelILi64EEvPjS0_PcS1_S1_S0_S0_PdP6loc_htS0_P11loc_ht_boolijS0_llliijS1_S1_S0_i,"axG",@progbits,_Z22iterative_walks_kernelILi64EEvPjS0_PcS1_S1_S0_S0_PdP6loc_htS0_P11loc_ht_boolijS0_llliijS1_S1_S0_i,comdat
	.protected	_Z22iterative_walks_kernelILi64EEvPjS0_PcS1_S1_S0_S0_PdP6loc_htS0_P11loc_ht_boolijS0_llliijS1_S1_S0_i ; -- Begin function _Z22iterative_walks_kernelILi64EEvPjS0_PcS1_S1_S0_S0_PdP6loc_htS0_P11loc_ht_boolijS0_llliijS1_S1_S0_i
	.globl	_Z22iterative_walks_kernelILi64EEvPjS0_PcS1_S1_S0_S0_PdP6loc_htS0_P11loc_ht_boolijS0_llliijS1_S1_S0_i
	.p2align	8
	.type	_Z22iterative_walks_kernelILi64EEvPjS0_PcS1_S1_S0_S0_PdP6loc_htS0_P11loc_ht_boolijS0_llliijS1_S1_S0_i,@function
_Z22iterative_walks_kernelILi64EEvPjS0_PcS1_S1_S0_S0_PdP6loc_htS0_P11loc_ht_boolijS0_llliijS1_S1_S0_i: ; @_Z22iterative_walks_kernelILi64EEvPjS0_PcS1_S1_S0_S0_PdP6loc_htS0_P11loc_ht_boolijS0_llliijS1_S1_S0_i
; %bb.0:
	s_mov_b64 s[34:35], s[4:5]
	s_load_dword s4, s[4:5], 0xbc
	s_load_dword s5, s[34:35], 0xa8
	s_add_u32 s0, s0, s7
	s_addc_u32 s1, s1, 0
	s_add_u32 s52, s34, 0xb0
	s_addc_u32 s53, s35, 0
	s_movk_i32 s32, 0xc00
	s_waitcnt lgkmcnt(0)
	s_and_b32 s4, s4, 0xffff
	v_mad_u64_u32 v[1:2], null, s6, s4, v[0:1]
	s_mov_b32 s4, exec_lo
	v_lshrrev_b32_e32 v7, 6, v1
	v_cmpx_gt_i32_e64 s5, v7
	s_cbranch_execz .LBB2_708
; %bb.1:
	s_clause 0x4
	s_load_dwordx16 s[36:51], s[34:35], 0x8
	s_load_dwordx4 s[8:11], s[34:35], 0x48
	s_load_dwordx2 s[6:7], s[34:35], 0x58
	s_load_dwordx2 s[54:55], s[34:35], 0x70
	s_load_dwordx4 s[12:15], s[34:35], 0x90
	v_cmp_lt_u32_e64 s33, 63, v1
	v_lshlrev_b32_e32 v47, 2, v7
                                        ; implicit-def: $vgpr55_vgpr56
                                        ; implicit-def: $vgpr57_vgpr58
                                        ; implicit-def: $vgpr61_vgpr62
                                        ; implicit-def: $vgpr65_vgpr66
                                        ; implicit-def: $vgpr59_vgpr60
                                        ; implicit-def: $vgpr42
                                        ; implicit-def: $vgpr40_vgpr41
                                        ; implicit-def: $vgpr77
                                        ; implicit-def: $vgpr63_vgpr64
                                        ; implicit-def: $vgpr78
                                        ; implicit-def: $vgpr1_vgpr2
	s_and_saveexec_b32 s4, s33
	s_xor_b32 s5, exec_lo, s4
	s_cbranch_execz .LBB2_7
; %bb.2:
	s_waitcnt lgkmcnt(0)
	global_load_dwordx2 v[3:4], v47, s[46:47] offset:-4
	v_lshlrev_b32_e32 v1, 3, v7
	v_mov_b32_e32 v56, s41
	v_mov_b32_e32 v55, s40
	global_load_dwordx2 v[5:6], v47, s[36:37] offset:-4
	global_load_dwordx2 v[1:2], v1, s[48:49]
	s_waitcnt vmcnt(2)
	v_cmp_ne_u32_e32 vcc_lo, 0, v3
	s_and_saveexec_b32 s16, vcc_lo
	s_cbranch_execz .LBB2_4
; %bb.3:
	v_add_nc_u32_e32 v8, -1, v3
	v_mov_b32_e32 v9, 0
	v_lshlrev_b64 v[8:9], 2, v[8:9]
	v_add_co_u32 v8, s4, s44, v8
	v_add_co_ci_u32_e64 v9, null, s45, v9, s4
	global_load_dword v8, v[8:9], off
	s_waitcnt vmcnt(0)
	v_add_co_u32 v55, s4, s40, v8
	v_add_co_ci_u32_e64 v56, null, s41, 0, s4
.LBB2_4:
	s_or_b32 exec_lo, exec_lo, s16
	v_mov_b32_e32 v58, s43
	v_mov_b32_e32 v57, s42
	s_and_saveexec_b32 s4, vcc_lo
	s_cbranch_execz .LBB2_6
; %bb.5:
	v_add_nc_u32_e32 v8, -1, v3
	v_mov_b32_e32 v9, 0
	v_lshlrev_b64 v[8:9], 2, v[8:9]
	v_add_co_u32 v8, vcc_lo, s44, v8
	v_add_co_ci_u32_e64 v9, null, s45, v9, vcc_lo
	global_load_dword v8, v[8:9], off
	s_waitcnt vmcnt(0)
	v_add_co_u32 v57, s16, s42, v8
	v_add_co_ci_u32_e64 v58, null, s43, 0, s16
.LBB2_6:
	s_or_b32 exec_lo, exec_lo, s4
	global_load_dwordx2 v[8:9], v47, s[8:9] offset:-4
	v_mad_u64_u32 v[10:11], null, s54, v7, 0
	s_add_u32 s4, s54, s7
	s_waitcnt vmcnt(2)
	v_sub_nc_u32_e32 v77, v6, v5
	v_mad_u64_u32 v[61:62], null, s4, v7, s[14:15]
	v_add_co_u32 v63, s4, s38, v5
	v_mad_u64_u32 v[59:60], null, v10, 24, s[10:11]
	v_mad_u64_u32 v[11:12], null, s55, v7, v[11:12]
	v_add_co_ci_u32_e64 v64, null, s39, 0, s4
	s_addc_u32 s4, s55, 0
	v_add_co_u32 v65, vcc_lo, s12, v10
	v_mov_b32_e32 v12, v60
	v_add_co_ci_u32_e64 v66, null, s13, v11, vcc_lo
	v_sub_nc_u32_e32 v78, v4, v3
	v_mad_u64_u32 v[12:13], null, v11, 24, v[12:13]
	v_mov_b32_e32 v13, v62
	v_mad_u64_u32 v[5:6], null, s4, v7, v[13:14]
	v_mov_b32_e32 v60, v12
	v_mov_b32_e32 v62, v5
	s_waitcnt vmcnt(0)
	v_mad_u64_u32 v[40:41], null, v8, 56, s[50:51]
	v_sub_nc_u32_e32 v42, v9, v8
.LBB2_7:
	s_or_saveexec_b32 s4, s5
	s_load_dwordx2 s[56:57], s[34:35], 0xa0
	s_xor_b32 exec_lo, exec_lo, s4
	s_cbranch_execz .LBB2_9
; %bb.8:
	s_waitcnt lgkmcnt(0)
	s_load_dwordx2 s[16:17], s[48:49], 0x0
	s_load_dword s5, s[46:47], 0x0
	s_load_dword s7, s[36:37], 0x0
	;; [unrolled: 1-line block ×3, first 2 shown]
	v_mov_b32_e32 v64, s39
	v_mov_b32_e32 v40, s50
	;; [unrolled: 1-line block ×14, first 2 shown]
	s_waitcnt lgkmcnt(0)
	v_mov_b32_e32 v1, s16
	v_mov_b32_e32 v2, s17
	;; [unrolled: 1-line block ×5, first 2 shown]
.LBB2_9:
	s_or_b32 exec_lo, exec_lo, s4
	v_min_i32_e32 v79, 0x79, v77
	s_waitcnt lgkmcnt(0)
	s_cmp_gt_i32 s6, 20
	v_and_b32_e32 v67, 63, v0
	v_mov_b32_e32 v0, 0
	s_cselect_b32 s4, -1, 0
	v_cmp_le_i32_e32 vcc_lo, s6, v79
	s_and_b32 s4, s4, vcc_lo
	s_and_saveexec_b32 s48, s4
	s_cbranch_execz .LBB2_706
; %bb.10:
	v_cvt_i32_f64_e32 v0, v[1:2]
	v_cvt_f32_u32_e32 v2, s54
	v_cvt_f32_u32_e32 v3, v42
	s_mov_b32 s8, 0x9999999a
	s_mov_b32 s10, 0x33333333
	;; [unrolled: 1-line block ×3, first 2 shown]
	v_rcp_iflag_f32_e32 v2, v2
	v_rcp_iflag_f32_e32 v3, v3
	s_mov_b32 s11, 0x3fd33333
	s_getpc_b64 s[4:5]
	s_add_u32 s4, s4, .str.3@rel32@lo+4
	s_addc_u32 s5, s5, .str.3@rel32@hi+12
	v_sub_nc_u32_e32 v4, 0, v42
	s_cmp_lg_u64 s[4:5], 0
	s_load_dword s50, s[34:35], 0x88
	s_cselect_b32 s49, -1, 0
	s_getpc_b64 s[4:5]
	s_add_u32 s4, s4, .str.4@rel32@lo+4
	s_addc_u32 s5, s5, .str.4@rel32@hi+12
	v_mov_b32_e32 v44, 0
	v_mul_f32_e32 v5, 0x4f7ffffe, v2
	v_mul_f32_e32 v6, 0x4f7ffffe, v3
	s_cmp_lg_u64 s[4:5], 0
	v_mov_b32_e32 v46, 1
	s_cselect_b32 s60, -1, 0
	v_cvt_u32_f32_e32 v7, v5
	v_cvt_f64_i32_e32 v[0:1], v0
	v_cvt_u32_f32_e32 v6, v6
	s_cmp_gt_i32 s54, 0
	v_mov_b32_e32 v68, v44
	s_cselect_b32 s61, -1, 0
	s_sub_i32 s4, 0, s54
	v_mul_lo_u32 v4, v4, v6
	v_mul_lo_u32 v5, s4, v7
	v_add_co_u32 v69, s4, s46, v47
	v_cmp_gt_i64_e64 s39, s[54:55], v[67:68]
	v_cmp_lt_u32_e64 s36, v67, v42
	v_cmp_ne_u32_e64 s37, 0, v78
	v_add_co_ci_u32_e64 v70, null, s47, 0, s4
	v_mul_hi_u32 v8, v7, v5
	v_mul_hi_u32 v9, v6, v4
	v_mad_u64_u32 v[4:5], null, v67, 56, v[40:41]
	v_cmp_eq_u32_e64 s38, 0, v67
	v_mov_b32_e32 v82, -1
	v_mbcnt_lo_u32_b32 v83, -1, 0
	v_mul_f64 v[2:3], v[0:1], s[8:9]
	v_mul_f64 v[0:1], v[0:1], s[10:11]
	v_add_nc_u32_e32 v80, v7, v8
	v_add_co_u32 v75, vcc_lo, v4, 8
	v_add_nc_u32_e32 v81, v6, v9
	v_add_co_ci_u32_e64 v76, null, 0, v5, vcc_lo
	v_mov_b32_e32 v4, s6
	v_mov_b32_e32 v45, 2
	;; [unrolled: 1-line block ×7, first 2 shown]
	s_mov_b32 s51, 32
	s_mov_b32 s58, 48
	;; [unrolled: 1-line block ×5, first 2 shown]
	v_max_f64 v[71:72], v[2:3], 2.0
	v_max_f64 v[73:74], v[0:1], 2.0
	s_branch .LBB2_13
.LBB2_11:                               ;   in Loop: Header=BB2_13 Depth=1
	s_or_b32 exec_lo, exec_lo, s6
	s_orn2_b32 s8, s4, exec_lo
.LBB2_12:                               ;   in Loop: Header=BB2_13 Depth=1
	s_or_b32 exec_lo, exec_lo, s5
	s_and_b32 s4, exec_lo, s8
	s_or_b32 s62, s4, s62
	s_andn2_b32 exec_lo, exec_lo, s62
	s_cbranch_execz .LBB2_705
.LBB2_13:                               ; =>This Loop Header: Depth=1
                                        ;     Child Loop BB2_15 Depth 2
                                        ;     Child Loop BB2_20 Depth 2
                                        ;       Child Loop BB2_34 Depth 3
                                        ;         Child Loop BB2_38 Depth 4
                                        ;         Child Loop BB2_46 Depth 4
	;; [unrolled: 1-line block ×9, first 2 shown]
                                        ;           Child Loop BB2_67 Depth 5
                                        ;           Child Loop BB2_74 Depth 5
	;; [unrolled: 1-line block ×11, first 2 shown]
                                        ;     Child Loop BB2_214 Depth 2
                                        ;       Child Loop BB2_323 Depth 3
                                        ;       Child Loop BB2_331 Depth 3
	;; [unrolled: 1-line block ×9, first 2 shown]
                                        ;         Child Loop BB2_424 Depth 4
                                        ;         Child Loop BB2_431 Depth 4
	;; [unrolled: 1-line block ×11, first 2 shown]
                                        ;     Child Loop BB2_560 Depth 2
                                        ;     Child Loop BB2_563 Depth 2
	;; [unrolled: 1-line block ×3, first 2 shown]
                                        ;       Child Loop BB2_576 Depth 3
                                        ;       Child Loop BB2_595 Depth 3
	;; [unrolled: 1-line block ×3, first 2 shown]
                                        ;         Child Loop BB2_606 Depth 4
                                        ;       Child Loop BB2_620 Depth 3
                                        ;       Child Loop BB2_639 Depth 3
	;; [unrolled: 1-line block ×3, first 2 shown]
                                        ;         Child Loop BB2_650 Depth 4
                                        ;     Child Loop BB2_691 Depth 2
	s_and_saveexec_b32 s5, s36
	s_cbranch_execz .LBB2_16
; %bb.14:                               ;   in Loop: Header=BB2_13 Depth=1
	v_mov_b32_e32 v0, v75
	v_mov_b32_e32 v1, v76
	;; [unrolled: 1-line block ×3, first 2 shown]
	s_mov_b32 s6, 0
.LBB2_15:                               ;   Parent Loop BB2_13 Depth=1
                                        ; =>  This Inner Loop Header: Depth=2
	v_add_nc_u32_e32 v2, 64, v2
	global_store_dword v[0:1], v82, off
	v_add_co_u32 v0, s4, 0xe00, v0
	v_add_co_ci_u32_e64 v1, null, 0, v1, s4
	v_cmp_ge_u32_e32 vcc_lo, v2, v42
	s_or_b32 s6, vcc_lo, s6
	s_andn2_b32 exec_lo, exec_lo, s6
	s_cbranch_execnz .LBB2_15
.LBB2_16:                               ;   in Loop: Header=BB2_13 Depth=1
	s_or_b32 exec_lo, exec_lo, s5
	s_and_saveexec_b32 s63, s37
	s_cbranch_execz .LBB2_210
; %bb.17:                               ;   in Loop: Header=BB2_13 Depth=1
	v_mov_b32_e32 v88, 0
	s_mov_b32 s64, 0
	s_mov_b32 s65, 0
	s_branch .LBB2_20
.LBB2_18:                               ;   in Loop: Header=BB2_20 Depth=2
	s_or_b32 exec_lo, exec_lo, s67
	v_add_nc_u32_e32 v88, v89, v88
.LBB2_19:                               ;   in Loop: Header=BB2_20 Depth=2
	s_or_b32 exec_lo, exec_lo, s66
	s_add_i32 s65, s65, 1
	v_cmp_eq_u32_e32 vcc_lo, s65, v78
	s_or_b32 s64, vcc_lo, s64
	s_andn2_b32 exec_lo, exec_lo, s64
	s_cbranch_execz .LBB2_210
.LBB2_20:                               ;   Parent Loop BB2_13 Depth=1
                                        ; =>  This Loop Header: Depth=2
                                        ;       Child Loop BB2_34 Depth 3
                                        ;         Child Loop BB2_38 Depth 4
                                        ;         Child Loop BB2_46 Depth 4
                                        ;         Child Loop BB2_55 Depth 4
                                        ;         Child Loop BB2_60 Depth 4
                                        ;         Child Loop BB2_144 Depth 4
                                        ;         Child Loop BB2_152 Depth 4
                                        ;         Child Loop BB2_161 Depth 4
                                        ;         Child Loop BB2_166 Depth 4
                                        ;         Child Loop BB2_64 Depth 4
                                        ;           Child Loop BB2_67 Depth 5
                                        ;           Child Loop BB2_74 Depth 5
                                        ;           Child Loop BB2_81 Depth 5
                                        ;           Child Loop BB2_88 Depth 5
                                        ;           Child Loop BB2_95 Depth 5
                                        ;           Child Loop BB2_102 Depth 5
                                        ;           Child Loop BB2_109 Depth 5
                                        ;           Child Loop BB2_116 Depth 5
                                        ;           Child Loop BB2_124 Depth 5
                                        ;           Child Loop BB2_133 Depth 5
                                        ;           Child Loop BB2_138 Depth 5
	s_cmp_lg_u32 s65, 0
	s_cbranch_scc0 .LBB2_23
; %bb.21:                               ;   in Loop: Header=BB2_20 Depth=2
	global_load_dword v0, v[69:70], off
	s_waitcnt vmcnt(0)
	v_sub_nc_u32_e32 v0, v0, v78
	v_add_nc_u32_e32 v43, s65, v0
	v_lshlrev_b64 v[0:1], 2, v[43:44]
	v_add_nc_u32_e32 v43, -1, v43
	v_lshlrev_b64 v[2:3], 2, v[43:44]
	v_add_co_u32 v0, vcc_lo, s44, v0
	v_add_co_ci_u32_e64 v1, null, s45, v1, vcc_lo
	v_add_co_u32 v2, vcc_lo, s44, v2
	v_add_co_ci_u32_e64 v3, null, s45, v3, vcc_lo
	s_clause 0x1
	global_load_dword v0, v[0:1], off
	global_load_dword v1, v[2:3], off
	s_waitcnt vmcnt(0)
	v_sub_nc_u32_e32 v89, v0, v1
	s_cbranch_execz .LBB2_24
; %bb.22:                               ;   in Loop: Header=BB2_20 Depth=2
	s_mov_b32 s66, exec_lo
	v_cmpx_ge_i32_e64 v89, v4
	s_cbranch_execz .LBB2_19
	s_branch .LBB2_31
.LBB2_23:                               ;   in Loop: Header=BB2_20 Depth=2
                                        ; implicit-def: $vgpr89
.LBB2_24:                               ;   in Loop: Header=BB2_20 Depth=2
                                        ; implicit-def: $vgpr89
	s_and_saveexec_b32 s4, s33
	s_xor_b32 s4, exec_lo, s4
	s_cbranch_execz .LBB2_28
; %bb.25:                               ;   in Loop: Header=BB2_20 Depth=2
	global_load_dwordx2 v[0:1], v[69:70], off offset:-4
	s_mov_b32 s5, exec_lo
	s_waitcnt vmcnt(0)
	v_sub_nc_u32_e32 v43, v1, v78
	v_lshlrev_b64 v[1:2], 2, v[43:44]
	v_add_co_u32 v1, vcc_lo, s44, v1
	v_add_co_ci_u32_e64 v2, null, s45, v2, vcc_lo
	global_load_dword v89, v[1:2], off
	v_cmpx_ne_u32_e32 0, v0
	s_cbranch_execz .LBB2_27
; %bb.26:                               ;   in Loop: Header=BB2_20 Depth=2
	v_add_nc_u32_e32 v43, -1, v0
	v_lshlrev_b64 v[0:1], 2, v[43:44]
	v_add_co_u32 v0, vcc_lo, s44, v0
	v_add_co_ci_u32_e64 v1, null, s45, v1, vcc_lo
	global_load_dword v0, v[0:1], off
	s_waitcnt vmcnt(0)
	v_sub_nc_u32_e32 v89, v89, v0
.LBB2_27:                               ;   in Loop: Header=BB2_20 Depth=2
	s_or_b32 exec_lo, exec_lo, s5
.LBB2_28:                               ;   in Loop: Header=BB2_20 Depth=2
	s_andn2_saveexec_b32 s4, s4
	s_cbranch_execz .LBB2_30
; %bb.29:                               ;   in Loop: Header=BB2_20 Depth=2
	global_load_dword v0, v44, s[46:47]
	s_waitcnt vmcnt(0)
	v_sub_nc_u32_e32 v43, v0, v78
	v_lshlrev_b64 v[0:1], 2, v[43:44]
	v_add_co_u32 v0, vcc_lo, s44, v0
	v_add_co_ci_u32_e64 v1, null, s45, v1, vcc_lo
	global_load_dword v89, v[0:1], off
.LBB2_30:                               ;   in Loop: Header=BB2_20 Depth=2
	s_or_b32 exec_lo, exec_lo, s4
	s_mov_b32 s66, exec_lo
	s_waitcnt vmcnt(0)
	v_cmpx_ge_i32_e64 v89, v4
	s_cbranch_execz .LBB2_19
.LBB2_31:                               ;   in Loop: Header=BB2_20 Depth=2
	v_sub_nc_u32_e32 v90, v89, v4
	s_mov_b32 s67, exec_lo
	v_cmpx_lt_i32_e64 v67, v90
	s_cbranch_execz .LBB2_18
; %bb.32:                               ;   in Loop: Header=BB2_20 Depth=2
	v_add_co_u32 v91, vcc_lo, v55, v88
	v_add_co_ci_u32_e64 v92, null, 0, v56, vcc_lo
	v_add_co_u32 v93, vcc_lo, v57, v88
	v_add_co_ci_u32_e64 v94, null, 0, v58, vcc_lo
	v_mov_b32_e32 v95, v67
	s_mov_b32 s68, 0
	s_branch .LBB2_34
.LBB2_33:                               ;   in Loop: Header=BB2_34 Depth=3
	s_or_b32 exec_lo, exec_lo, s5
	v_add_nc_u32_e32 v95, 64, v95
	v_cmp_ge_i32_e32 vcc_lo, v95, v90
	s_or_b32 s68, vcc_lo, s68
	s_andn2_b32 exec_lo, exec_lo, s68
	s_cbranch_execz .LBB2_18
.LBB2_34:                               ;   Parent Loop BB2_13 Depth=1
                                        ;     Parent Loop BB2_20 Depth=2
                                        ; =>    This Loop Header: Depth=3
                                        ;         Child Loop BB2_38 Depth 4
                                        ;         Child Loop BB2_46 Depth 4
	;; [unrolled: 1-line block ×9, first 2 shown]
                                        ;           Child Loop BB2_67 Depth 5
                                        ;           Child Loop BB2_74 Depth 5
	;; [unrolled: 1-line block ×11, first 2 shown]
	v_add_co_u32 v2, vcc_lo, v91, v95
	v_add_co_ci_u32_e64 v3, null, 0, v92, vcc_lo
	v_mov_b32_e32 v0, v40
	v_mov_b32_e32 v1, v41
	;; [unrolled: 1-line block ×3, first 2 shown]
	s_add_u32 s8, s34, 0xb0
	s_addc_u32 s9, s35, 0
	s_getpc_b64 s[4:5]
	s_add_u32 s4, s4, _Z13ht_get_atomicP6loc_ht9cstr_typej@rel32@lo+4
	s_addc_u32 s5, s5, _Z13ht_get_atomicP6loc_ht9cstr_typej@rel32@hi+12
	s_swappc_b64 s[30:31], s[4:5]
	v_add_nc_u32_e32 v27, v95, v4
	s_mov_b32 s18, exec_lo
	v_cmpx_ge_i32_e64 v27, v89
	s_cbranch_execz .LBB2_167
; %bb.35:                               ;   in Loop: Header=BB2_34 Depth=3
	s_load_dwordx2 s[6:7], s[52:53], 0x50
	v_readfirstlane_b32 s4, v83
	v_mov_b32_e32 v2, 0
	v_mov_b32_e32 v3, 0
	v_cmp_eq_u32_e64 s4, s4, v83
	s_and_saveexec_b32 s5, s4
	s_cbranch_execz .LBB2_41
; %bb.36:                               ;   in Loop: Header=BB2_34 Depth=3
	s_waitcnt lgkmcnt(0)
	global_load_dwordx2 v[7:8], v44, s[6:7] offset:24 glc dlc
	s_waitcnt vmcnt(0)
	buffer_gl1_inv
	buffer_gl0_inv
	s_clause 0x1
	global_load_dwordx2 v[2:3], v44, s[6:7] offset:40
	global_load_dwordx2 v[5:6], v44, s[6:7]
	s_mov_b32 s8, exec_lo
	s_waitcnt vmcnt(1)
	v_and_b32_e32 v3, v3, v8
	v_and_b32_e32 v2, v2, v7
	v_mul_lo_u32 v3, v3, 24
	v_mul_hi_u32 v9, v2, 24
	v_mul_lo_u32 v2, v2, 24
	v_add_nc_u32_e32 v3, v9, v3
	s_waitcnt vmcnt(0)
	v_add_co_u32 v2, vcc_lo, v5, v2
	v_add_co_ci_u32_e64 v3, null, v6, v3, vcc_lo
	global_load_dwordx2 v[5:6], v[2:3], off glc dlc
	s_waitcnt vmcnt(0)
	global_atomic_cmpswap_x2 v[2:3], v44, v[5:8], s[6:7] offset:24 glc
	s_waitcnt vmcnt(0)
	buffer_gl1_inv
	buffer_gl0_inv
	v_cmpx_ne_u64_e64 v[2:3], v[7:8]
	s_cbranch_execz .LBB2_40
; %bb.37:                               ;   in Loop: Header=BB2_34 Depth=3
	s_mov_b32 s9, 0
	.p2align	6
.LBB2_38:                               ;   Parent Loop BB2_13 Depth=1
                                        ;     Parent Loop BB2_20 Depth=2
                                        ;       Parent Loop BB2_34 Depth=3
                                        ; =>      This Inner Loop Header: Depth=4
	s_sleep 1
	s_clause 0x1
	global_load_dwordx2 v[5:6], v44, s[6:7] offset:40
	global_load_dwordx2 v[9:10], v44, s[6:7]
	v_mov_b32_e32 v8, v3
	v_mov_b32_e32 v7, v2
	s_waitcnt vmcnt(1)
	v_and_b32_e32 v2, v5, v7
	v_and_b32_e32 v5, v6, v8
	s_waitcnt vmcnt(0)
	v_mad_u64_u32 v[2:3], null, v2, 24, v[9:10]
	v_mad_u64_u32 v[5:6], null, v5, 24, v[3:4]
	v_mov_b32_e32 v3, v5
	global_load_dwordx2 v[5:6], v[2:3], off glc dlc
	s_waitcnt vmcnt(0)
	global_atomic_cmpswap_x2 v[2:3], v44, v[5:8], s[6:7] offset:24 glc
	s_waitcnt vmcnt(0)
	buffer_gl1_inv
	buffer_gl0_inv
	v_cmp_eq_u64_e32 vcc_lo, v[2:3], v[7:8]
	s_or_b32 s9, vcc_lo, s9
	s_andn2_b32 exec_lo, exec_lo, s9
	s_cbranch_execnz .LBB2_38
; %bb.39:                               ;   in Loop: Header=BB2_34 Depth=3
	s_or_b32 exec_lo, exec_lo, s9
.LBB2_40:                               ;   in Loop: Header=BB2_34 Depth=3
	s_or_b32 exec_lo, exec_lo, s8
.LBB2_41:                               ;   in Loop: Header=BB2_34 Depth=3
	s_or_b32 exec_lo, exec_lo, s5
	s_waitcnt lgkmcnt(0)
	s_clause 0x1
	global_load_dwordx2 v[9:10], v44, s[6:7] offset:40
	global_load_dwordx4 v[5:8], v44, s[6:7]
	v_readfirstlane_b32 s9, v3
	v_readfirstlane_b32 s8, v2
	s_mov_b32 s5, exec_lo
	s_waitcnt vmcnt(1)
	v_readfirstlane_b32 s10, v9
	v_readfirstlane_b32 s11, v10
	s_and_b64 s[10:11], s[10:11], s[8:9]
	s_mul_i32 s12, s11, 24
	s_mul_hi_u32 s13, s10, 24
	s_mul_i32 s14, s10, 24
	s_add_i32 s13, s13, s12
	s_waitcnt vmcnt(0)
	v_add_co_u32 v2, vcc_lo, v5, s14
	v_add_co_ci_u32_e64 v3, null, s13, v6, vcc_lo
	s_and_saveexec_b32 s12, s4
	s_cbranch_execz .LBB2_43
; %bb.42:                               ;   in Loop: Header=BB2_34 Depth=3
	v_mov_b32_e32 v43, s5
	global_store_dwordx4 v[2:3], v[43:46], off offset:8
.LBB2_43:                               ;   in Loop: Header=BB2_34 Depth=3
	s_or_b32 exec_lo, exec_lo, s12
	s_lshl_b64 s[10:11], s[10:11], 12
	s_mov_b32 s41, s40
	v_add_co_u32 v11, vcc_lo, v7, s10
	v_add_co_ci_u32_e64 v12, null, s11, v8, vcc_lo
	s_mov_b32 s42, s40
	s_mov_b32 s43, s40
	v_lshlrev_b32_e32 v28, 6, v83
	v_mov_b32_e32 v52, v44
	v_mov_b32_e32 v53, v44
	;; [unrolled: 1-line block ×3, first 2 shown]
	v_readfirstlane_b32 s10, v11
	v_readfirstlane_b32 s11, v12
	v_mov_b32_e32 v7, s40
	v_mov_b32_e32 v8, s41
	;; [unrolled: 1-line block ×4, first 2 shown]
	global_store_dwordx4 v28, v[51:54], s[10:11]
	global_store_dwordx4 v28, v[7:10], s[10:11] offset:16
	global_store_dwordx4 v28, v[7:10], s[10:11] offset:32
	;; [unrolled: 1-line block ×3, first 2 shown]
	s_and_saveexec_b32 s5, s4
	s_cbranch_execz .LBB2_51
; %bb.44:                               ;   in Loop: Header=BB2_34 Depth=3
	s_clause 0x1
	global_load_dwordx2 v[15:16], v44, s[6:7] offset:32 glc dlc
	global_load_dwordx2 v[7:8], v44, s[6:7] offset:40
	v_mov_b32_e32 v13, s8
	v_mov_b32_e32 v14, s9
	s_mov_b32 s10, exec_lo
	s_waitcnt vmcnt(0)
	v_and_b32_e32 v8, s9, v8
	v_and_b32_e32 v7, s8, v7
	v_mul_lo_u32 v8, v8, 24
	v_mul_hi_u32 v9, v7, 24
	v_mul_lo_u32 v7, v7, 24
	v_add_nc_u32_e32 v8, v9, v8
	v_add_co_u32 v9, vcc_lo, v5, v7
	v_add_co_ci_u32_e64 v10, null, v6, v8, vcc_lo
	global_store_dwordx2 v[9:10], v[15:16], off
	s_waitcnt_vscnt null, 0x0
	global_atomic_cmpswap_x2 v[7:8], v44, v[13:16], s[6:7] offset:32 glc
	s_waitcnt vmcnt(0)
	v_cmpx_ne_u64_e64 v[7:8], v[15:16]
	s_cbranch_execz .LBB2_47
; %bb.45:                               ;   in Loop: Header=BB2_34 Depth=3
	s_mov_b32 s11, 0
.LBB2_46:                               ;   Parent Loop BB2_13 Depth=1
                                        ;     Parent Loop BB2_20 Depth=2
                                        ;       Parent Loop BB2_34 Depth=3
                                        ; =>      This Inner Loop Header: Depth=4
	v_mov_b32_e32 v5, s8
	v_mov_b32_e32 v6, s9
	s_sleep 1
	global_store_dwordx2 v[9:10], v[7:8], off
	s_waitcnt_vscnt null, 0x0
	global_atomic_cmpswap_x2 v[5:6], v44, v[5:8], s[6:7] offset:32 glc
	s_waitcnt vmcnt(0)
	v_cmp_eq_u64_e32 vcc_lo, v[5:6], v[7:8]
	v_mov_b32_e32 v8, v6
	v_mov_b32_e32 v7, v5
	s_or_b32 s11, vcc_lo, s11
	s_andn2_b32 exec_lo, exec_lo, s11
	s_cbranch_execnz .LBB2_46
.LBB2_47:                               ;   in Loop: Header=BB2_34 Depth=3
	s_or_b32 exec_lo, exec_lo, s10
	global_load_dwordx2 v[5:6], v44, s[6:7] offset:16
	s_mov_b32 s11, exec_lo
	s_mov_b32 s10, exec_lo
	v_mbcnt_lo_u32_b32 v7, s11, 0
	v_cmpx_eq_u32_e32 0, v7
	s_cbranch_execz .LBB2_49
; %bb.48:                               ;   in Loop: Header=BB2_34 Depth=3
	s_bcnt1_i32_b32 s11, s11
	v_mov_b32_e32 v43, s11
	s_waitcnt vmcnt(0)
	global_atomic_add_x2 v[5:6], v[43:44], off offset:8
.LBB2_49:                               ;   in Loop: Header=BB2_34 Depth=3
	s_or_b32 exec_lo, exec_lo, s10
	s_waitcnt vmcnt(0)
	global_load_dwordx2 v[7:8], v[5:6], off offset:16
	s_waitcnt vmcnt(0)
	v_cmp_eq_u64_e32 vcc_lo, 0, v[7:8]
	s_cbranch_vccnz .LBB2_51
; %bb.50:                               ;   in Loop: Header=BB2_34 Depth=3
	global_load_dword v43, v[5:6], off offset:24
	s_waitcnt vmcnt(0)
	v_readfirstlane_b32 s10, v43
	s_waitcnt_vscnt null, 0x0
	global_store_dwordx2 v[7:8], v[43:44], off
	s_and_b32 m0, s10, 0x7fffff
	s_sendmsg sendmsg(MSG_INTERRUPT)
.LBB2_51:                               ;   in Loop: Header=BB2_34 Depth=3
	s_or_b32 exec_lo, exec_lo, s5
	v_add_co_u32 v5, vcc_lo, v11, v28
	v_add_co_ci_u32_e64 v6, null, 0, v12, vcc_lo
	s_branch .LBB2_55
	.p2align	6
.LBB2_52:                               ;   in Loop: Header=BB2_55 Depth=4
	s_or_b32 exec_lo, exec_lo, s5
	v_readfirstlane_b32 s5, v7
	s_cmp_eq_u32 s5, 0
	s_cbranch_scc1 .LBB2_54
; %bb.53:                               ;   in Loop: Header=BB2_55 Depth=4
	s_sleep 1
	s_cbranch_execnz .LBB2_55
	s_branch .LBB2_57
	.p2align	6
.LBB2_54:                               ;   in Loop: Header=BB2_34 Depth=3
	s_branch .LBB2_57
.LBB2_55:                               ;   Parent Loop BB2_13 Depth=1
                                        ;     Parent Loop BB2_20 Depth=2
                                        ;       Parent Loop BB2_34 Depth=3
                                        ; =>      This Inner Loop Header: Depth=4
	v_mov_b32_e32 v7, 1
	s_and_saveexec_b32 s5, s4
	s_cbranch_execz .LBB2_52
; %bb.56:                               ;   in Loop: Header=BB2_55 Depth=4
	global_load_dword v7, v[2:3], off offset:20 glc dlc
	s_waitcnt vmcnt(0)
	buffer_gl1_inv
	buffer_gl0_inv
	v_and_b32_e32 v7, 1, v7
	s_branch .LBB2_52
.LBB2_57:                               ;   in Loop: Header=BB2_34 Depth=3
	global_load_dwordx2 v[5:6], v[5:6], off
	s_and_saveexec_b32 s10, s4
	s_cbranch_execz .LBB2_61
; %bb.58:                               ;   in Loop: Header=BB2_34 Depth=3
	s_clause 0x2
	global_load_dwordx2 v[2:3], v44, s[6:7] offset:40
	global_load_dwordx2 v[11:12], v44, s[6:7] offset:24 glc dlc
	global_load_dwordx2 v[7:8], v44, s[6:7]
	s_waitcnt vmcnt(2)
	v_readfirstlane_b32 s12, v2
	v_readfirstlane_b32 s13, v3
	s_add_u32 s11, s12, 1
	s_addc_u32 s14, s13, 0
	s_add_u32 s4, s11, s8
	s_addc_u32 s5, s14, s9
	s_cmp_eq_u64 s[4:5], 0
	s_cselect_b32 s5, s14, s5
	s_cselect_b32 s4, s11, s4
	v_mov_b32_e32 v10, s5
	s_and_b64 s[8:9], s[4:5], s[12:13]
	v_mov_b32_e32 v9, s4
	s_mul_i32 s9, s9, 24
	s_mul_hi_u32 s11, s8, 24
	s_mul_i32 s8, s8, 24
	s_add_i32 s11, s11, s9
	s_waitcnt vmcnt(0)
	v_add_co_u32 v2, vcc_lo, v7, s8
	v_add_co_ci_u32_e64 v3, null, s11, v8, vcc_lo
	global_store_dwordx2 v[2:3], v[11:12], off
	s_waitcnt_vscnt null, 0x0
	global_atomic_cmpswap_x2 v[9:10], v44, v[9:12], s[6:7] offset:24 glc
	s_waitcnt vmcnt(0)
	v_cmp_ne_u64_e32 vcc_lo, v[9:10], v[11:12]
	s_and_b32 exec_lo, exec_lo, vcc_lo
	s_cbranch_execz .LBB2_61
; %bb.59:                               ;   in Loop: Header=BB2_34 Depth=3
	s_mov_b32 s8, 0
.LBB2_60:                               ;   Parent Loop BB2_13 Depth=1
                                        ;     Parent Loop BB2_20 Depth=2
                                        ;       Parent Loop BB2_34 Depth=3
                                        ; =>      This Inner Loop Header: Depth=4
	v_mov_b32_e32 v7, s4
	v_mov_b32_e32 v8, s5
	s_sleep 1
	global_store_dwordx2 v[2:3], v[9:10], off
	s_waitcnt_vscnt null, 0x0
	global_atomic_cmpswap_x2 v[7:8], v44, v[7:10], s[6:7] offset:24 glc
	s_waitcnt vmcnt(0)
	v_cmp_eq_u64_e32 vcc_lo, v[7:8], v[9:10]
	v_mov_b32_e32 v10, v8
	v_mov_b32_e32 v9, v7
	s_or_b32 s8, vcc_lo, s8
	s_andn2_b32 exec_lo, exec_lo, s8
	s_cbranch_execnz .LBB2_60
.LBB2_61:                               ;   in Loop: Header=BB2_34 Depth=3
	s_or_b32 exec_lo, exec_lo, s10
	s_and_b32 vcc_lo, exec_lo, s49
	s_cbranch_vccz .LBB2_140
; %bb.62:                               ;   in Loop: Header=BB2_34 Depth=3
	s_waitcnt vmcnt(0)
	v_and_b32_e32 v7, -3, v5
	v_mov_b32_e32 v8, v6
	s_mov_b64 s[10:11], 45
	s_getpc_b64 s[8:9]
	s_add_u32 s8, s8, .str.3@rel32@lo+4
	s_addc_u32 s9, s9, .str.3@rel32@hi+12
	s_branch .LBB2_64
.LBB2_63:                               ;   in Loop: Header=BB2_64 Depth=4
	s_or_b32 exec_lo, exec_lo, s16
	s_sub_u32 s10, s10, s12
	s_subb_u32 s11, s11, s13
	s_add_u32 s8, s8, s12
	s_addc_u32 s9, s9, s13
	s_cmp_lg_u64 s[10:11], 0
	s_cbranch_scc0 .LBB2_139
.LBB2_64:                               ;   Parent Loop BB2_13 Depth=1
                                        ;     Parent Loop BB2_20 Depth=2
                                        ;       Parent Loop BB2_34 Depth=3
                                        ; =>      This Loop Header: Depth=4
                                        ;           Child Loop BB2_67 Depth 5
                                        ;           Child Loop BB2_74 Depth 5
	;; [unrolled: 1-line block ×11, first 2 shown]
	v_cmp_lt_u64_e64 s4, s[10:11], 56
	v_cmp_gt_u64_e64 s14, s[10:11], 7
	s_and_b32 s4, s4, exec_lo
	s_cselect_b32 s13, s11, 0
	s_cselect_b32 s12, s10, 56
	s_add_u32 s4, s8, 8
	s_addc_u32 s5, s9, 0
	s_and_b32 vcc_lo, exec_lo, s14
	s_cbranch_vccnz .LBB2_69
; %bb.65:                               ;   in Loop: Header=BB2_64 Depth=4
	s_waitcnt vmcnt(0)
	v_mov_b32_e32 v9, 0
	v_mov_b32_e32 v10, 0
	s_cmp_eq_u64 s[10:11], 0
	s_cbranch_scc1 .LBB2_68
; %bb.66:                               ;   in Loop: Header=BB2_64 Depth=4
	s_lshl_b64 s[4:5], s[12:13], 3
	s_mov_b64 s[14:15], 0
	s_mov_b64 s[16:17], s[8:9]
.LBB2_67:                               ;   Parent Loop BB2_13 Depth=1
                                        ;     Parent Loop BB2_20 Depth=2
                                        ;       Parent Loop BB2_34 Depth=3
                                        ;         Parent Loop BB2_64 Depth=4
                                        ; =>        This Inner Loop Header: Depth=5
	global_load_ubyte v2, v44, s[16:17]
	s_waitcnt vmcnt(0)
	v_and_b32_e32 v43, 0xffff, v2
	v_lshlrev_b64 v[2:3], s14, v[43:44]
	s_add_u32 s14, s14, 8
	s_addc_u32 s15, s15, 0
	s_add_u32 s16, s16, 1
	s_addc_u32 s17, s17, 0
	s_cmp_lg_u32 s4, s14
	v_or_b32_e32 v9, v2, v9
	v_or_b32_e32 v10, v3, v10
	s_cbranch_scc1 .LBB2_67
.LBB2_68:                               ;   in Loop: Header=BB2_64 Depth=4
	s_mov_b64 s[4:5], s[8:9]
	s_mov_b32 s19, 0
	s_cbranch_execz .LBB2_70
	s_branch .LBB2_71
.LBB2_69:                               ;   in Loop: Header=BB2_64 Depth=4
	s_mov_b32 s19, 0
.LBB2_70:                               ;   in Loop: Header=BB2_64 Depth=4
	global_load_dwordx2 v[9:10], v44, s[8:9]
	s_add_i32 s19, s12, -8
.LBB2_71:                               ;   in Loop: Header=BB2_64 Depth=4
	s_add_u32 s14, s4, 8
	s_addc_u32 s15, s5, 0
	s_cmp_gt_u32 s19, 7
	s_cbranch_scc1 .LBB2_76
; %bb.72:                               ;   in Loop: Header=BB2_64 Depth=4
	v_mov_b32_e32 v11, 0
	v_mov_b32_e32 v12, 0
	s_cmp_eq_u32 s19, 0
	s_cbranch_scc1 .LBB2_75
; %bb.73:                               ;   in Loop: Header=BB2_64 Depth=4
	s_mov_b64 s[14:15], 0
	s_mov_b64 s[16:17], 0
.LBB2_74:                               ;   Parent Loop BB2_13 Depth=1
                                        ;     Parent Loop BB2_20 Depth=2
                                        ;       Parent Loop BB2_34 Depth=3
                                        ;         Parent Loop BB2_64 Depth=4
                                        ; =>        This Inner Loop Header: Depth=5
	s_add_u32 s20, s4, s16
	s_addc_u32 s21, s5, s17
	s_add_u32 s16, s16, 1
	global_load_ubyte v2, v44, s[20:21]
	s_addc_u32 s17, s17, 0
	s_waitcnt vmcnt(0)
	v_and_b32_e32 v43, 0xffff, v2
	v_lshlrev_b64 v[2:3], s14, v[43:44]
	s_add_u32 s14, s14, 8
	s_addc_u32 s15, s15, 0
	s_cmp_lg_u32 s19, s16
	v_or_b32_e32 v11, v2, v11
	v_or_b32_e32 v12, v3, v12
	s_cbranch_scc1 .LBB2_74
.LBB2_75:                               ;   in Loop: Header=BB2_64 Depth=4
	s_mov_b64 s[14:15], s[4:5]
	s_mov_b32 s20, 0
	s_cbranch_execz .LBB2_77
	s_branch .LBB2_78
.LBB2_76:                               ;   in Loop: Header=BB2_64 Depth=4
                                        ; implicit-def: $vgpr11_vgpr12
	s_mov_b32 s20, 0
.LBB2_77:                               ;   in Loop: Header=BB2_64 Depth=4
	global_load_dwordx2 v[11:12], v44, s[4:5]
	s_add_i32 s20, s19, -8
.LBB2_78:                               ;   in Loop: Header=BB2_64 Depth=4
	s_add_u32 s4, s14, 8
	s_addc_u32 s5, s15, 0
	s_cmp_gt_u32 s20, 7
	s_cbranch_scc1 .LBB2_83
; %bb.79:                               ;   in Loop: Header=BB2_64 Depth=4
	v_mov_b32_e32 v13, 0
	v_mov_b32_e32 v14, 0
	s_cmp_eq_u32 s20, 0
	s_cbranch_scc1 .LBB2_82
; %bb.80:                               ;   in Loop: Header=BB2_64 Depth=4
	s_mov_b64 s[4:5], 0
	s_mov_b64 s[16:17], 0
.LBB2_81:                               ;   Parent Loop BB2_13 Depth=1
                                        ;     Parent Loop BB2_20 Depth=2
                                        ;       Parent Loop BB2_34 Depth=3
                                        ;         Parent Loop BB2_64 Depth=4
                                        ; =>        This Inner Loop Header: Depth=5
	s_add_u32 s22, s14, s16
	s_addc_u32 s23, s15, s17
	s_add_u32 s16, s16, 1
	global_load_ubyte v2, v44, s[22:23]
	s_addc_u32 s17, s17, 0
	s_waitcnt vmcnt(0)
	v_and_b32_e32 v43, 0xffff, v2
	v_lshlrev_b64 v[2:3], s4, v[43:44]
	s_add_u32 s4, s4, 8
	s_addc_u32 s5, s5, 0
	s_cmp_lg_u32 s20, s16
	v_or_b32_e32 v13, v2, v13
	v_or_b32_e32 v14, v3, v14
	s_cbranch_scc1 .LBB2_81
.LBB2_82:                               ;   in Loop: Header=BB2_64 Depth=4
	s_mov_b64 s[4:5], s[14:15]
	s_mov_b32 s19, 0
	s_cbranch_execz .LBB2_84
	s_branch .LBB2_85
.LBB2_83:                               ;   in Loop: Header=BB2_64 Depth=4
	s_mov_b32 s19, 0
.LBB2_84:                               ;   in Loop: Header=BB2_64 Depth=4
	global_load_dwordx2 v[13:14], v44, s[14:15]
	s_add_i32 s19, s20, -8
.LBB2_85:                               ;   in Loop: Header=BB2_64 Depth=4
	s_add_u32 s14, s4, 8
	s_addc_u32 s15, s5, 0
	s_cmp_gt_u32 s19, 7
	s_cbranch_scc1 .LBB2_90
; %bb.86:                               ;   in Loop: Header=BB2_64 Depth=4
	v_mov_b32_e32 v15, 0
	v_mov_b32_e32 v16, 0
	s_cmp_eq_u32 s19, 0
	s_cbranch_scc1 .LBB2_89
; %bb.87:                               ;   in Loop: Header=BB2_64 Depth=4
	s_mov_b64 s[14:15], 0
	s_mov_b64 s[16:17], 0
.LBB2_88:                               ;   Parent Loop BB2_13 Depth=1
                                        ;     Parent Loop BB2_20 Depth=2
                                        ;       Parent Loop BB2_34 Depth=3
                                        ;         Parent Loop BB2_64 Depth=4
                                        ; =>        This Inner Loop Header: Depth=5
	s_add_u32 s20, s4, s16
	s_addc_u32 s21, s5, s17
	s_add_u32 s16, s16, 1
	global_load_ubyte v2, v44, s[20:21]
	s_addc_u32 s17, s17, 0
	s_waitcnt vmcnt(0)
	v_and_b32_e32 v43, 0xffff, v2
	v_lshlrev_b64 v[2:3], s14, v[43:44]
	s_add_u32 s14, s14, 8
	s_addc_u32 s15, s15, 0
	s_cmp_lg_u32 s19, s16
	v_or_b32_e32 v15, v2, v15
	v_or_b32_e32 v16, v3, v16
	s_cbranch_scc1 .LBB2_88
.LBB2_89:                               ;   in Loop: Header=BB2_64 Depth=4
	s_mov_b64 s[14:15], s[4:5]
	s_mov_b32 s20, 0
	s_cbranch_execz .LBB2_91
	s_branch .LBB2_92
.LBB2_90:                               ;   in Loop: Header=BB2_64 Depth=4
                                        ; implicit-def: $vgpr15_vgpr16
	s_mov_b32 s20, 0
.LBB2_91:                               ;   in Loop: Header=BB2_64 Depth=4
	global_load_dwordx2 v[15:16], v44, s[4:5]
	s_add_i32 s20, s19, -8
.LBB2_92:                               ;   in Loop: Header=BB2_64 Depth=4
	s_add_u32 s4, s14, 8
	s_addc_u32 s5, s15, 0
	s_cmp_gt_u32 s20, 7
	s_cbranch_scc1 .LBB2_97
; %bb.93:                               ;   in Loop: Header=BB2_64 Depth=4
	v_mov_b32_e32 v17, 0
	v_mov_b32_e32 v18, 0
	s_cmp_eq_u32 s20, 0
	s_cbranch_scc1 .LBB2_96
; %bb.94:                               ;   in Loop: Header=BB2_64 Depth=4
	s_mov_b64 s[4:5], 0
	s_mov_b64 s[16:17], 0
.LBB2_95:                               ;   Parent Loop BB2_13 Depth=1
                                        ;     Parent Loop BB2_20 Depth=2
                                        ;       Parent Loop BB2_34 Depth=3
                                        ;         Parent Loop BB2_64 Depth=4
                                        ; =>        This Inner Loop Header: Depth=5
	s_add_u32 s22, s14, s16
	s_addc_u32 s23, s15, s17
	s_add_u32 s16, s16, 1
	global_load_ubyte v2, v44, s[22:23]
	s_addc_u32 s17, s17, 0
	s_waitcnt vmcnt(0)
	v_and_b32_e32 v43, 0xffff, v2
	v_lshlrev_b64 v[2:3], s4, v[43:44]
	s_add_u32 s4, s4, 8
	s_addc_u32 s5, s5, 0
	s_cmp_lg_u32 s20, s16
	v_or_b32_e32 v17, v2, v17
	v_or_b32_e32 v18, v3, v18
	s_cbranch_scc1 .LBB2_95
.LBB2_96:                               ;   in Loop: Header=BB2_64 Depth=4
	s_mov_b64 s[4:5], s[14:15]
	s_mov_b32 s19, 0
	s_cbranch_execz .LBB2_98
	s_branch .LBB2_99
.LBB2_97:                               ;   in Loop: Header=BB2_64 Depth=4
	s_mov_b32 s19, 0
.LBB2_98:                               ;   in Loop: Header=BB2_64 Depth=4
	global_load_dwordx2 v[17:18], v44, s[14:15]
	s_add_i32 s19, s20, -8
.LBB2_99:                               ;   in Loop: Header=BB2_64 Depth=4
	s_add_u32 s14, s4, 8
	s_addc_u32 s15, s5, 0
	s_cmp_gt_u32 s19, 7
	s_cbranch_scc1 .LBB2_104
; %bb.100:                              ;   in Loop: Header=BB2_64 Depth=4
	v_mov_b32_e32 v19, 0
	v_mov_b32_e32 v20, 0
	s_cmp_eq_u32 s19, 0
	s_cbranch_scc1 .LBB2_103
; %bb.101:                              ;   in Loop: Header=BB2_64 Depth=4
	s_mov_b64 s[14:15], 0
	s_mov_b64 s[16:17], 0
.LBB2_102:                              ;   Parent Loop BB2_13 Depth=1
                                        ;     Parent Loop BB2_20 Depth=2
                                        ;       Parent Loop BB2_34 Depth=3
                                        ;         Parent Loop BB2_64 Depth=4
                                        ; =>        This Inner Loop Header: Depth=5
	s_add_u32 s20, s4, s16
	s_addc_u32 s21, s5, s17
	s_add_u32 s16, s16, 1
	global_load_ubyte v2, v44, s[20:21]
	s_addc_u32 s17, s17, 0
	s_waitcnt vmcnt(0)
	v_and_b32_e32 v43, 0xffff, v2
	v_lshlrev_b64 v[2:3], s14, v[43:44]
	s_add_u32 s14, s14, 8
	s_addc_u32 s15, s15, 0
	s_cmp_lg_u32 s19, s16
	v_or_b32_e32 v19, v2, v19
	v_or_b32_e32 v20, v3, v20
	s_cbranch_scc1 .LBB2_102
.LBB2_103:                              ;   in Loop: Header=BB2_64 Depth=4
	s_mov_b64 s[14:15], s[4:5]
	s_mov_b32 s20, 0
	s_cbranch_execz .LBB2_105
	s_branch .LBB2_106
.LBB2_104:                              ;   in Loop: Header=BB2_64 Depth=4
                                        ; implicit-def: $vgpr19_vgpr20
	s_mov_b32 s20, 0
.LBB2_105:                              ;   in Loop: Header=BB2_64 Depth=4
	global_load_dwordx2 v[19:20], v44, s[4:5]
	s_add_i32 s20, s19, -8
.LBB2_106:                              ;   in Loop: Header=BB2_64 Depth=4
	s_cmp_gt_u32 s20, 7
	s_cbranch_scc1 .LBB2_111
; %bb.107:                              ;   in Loop: Header=BB2_64 Depth=4
	v_mov_b32_e32 v21, 0
	v_mov_b32_e32 v22, 0
	s_cmp_eq_u32 s20, 0
	s_cbranch_scc1 .LBB2_110
; %bb.108:                              ;   in Loop: Header=BB2_64 Depth=4
	s_mov_b64 s[4:5], 0
	s_mov_b64 s[16:17], s[14:15]
.LBB2_109:                              ;   Parent Loop BB2_13 Depth=1
                                        ;     Parent Loop BB2_20 Depth=2
                                        ;       Parent Loop BB2_34 Depth=3
                                        ;         Parent Loop BB2_64 Depth=4
                                        ; =>        This Inner Loop Header: Depth=5
	global_load_ubyte v2, v44, s[16:17]
	s_add_i32 s20, s20, -1
	s_waitcnt vmcnt(0)
	v_and_b32_e32 v43, 0xffff, v2
	v_lshlrev_b64 v[2:3], s4, v[43:44]
	s_add_u32 s4, s4, 8
	s_addc_u32 s5, s5, 0
	s_add_u32 s16, s16, 1
	s_addc_u32 s17, s17, 0
	s_cmp_lg_u32 s20, 0
	v_or_b32_e32 v21, v2, v21
	v_or_b32_e32 v22, v3, v22
	s_cbranch_scc1 .LBB2_109
.LBB2_110:                              ;   in Loop: Header=BB2_64 Depth=4
	s_cbranch_execz .LBB2_112
	s_branch .LBB2_113
.LBB2_111:                              ;   in Loop: Header=BB2_64 Depth=4
.LBB2_112:                              ;   in Loop: Header=BB2_64 Depth=4
	global_load_dwordx2 v[21:22], v44, s[14:15]
.LBB2_113:                              ;   in Loop: Header=BB2_64 Depth=4
	v_readfirstlane_b32 s4, v83
	v_mov_b32_e32 v2, 0
	v_mov_b32_e32 v3, 0
	v_cmp_eq_u32_e64 s4, s4, v83
	s_and_saveexec_b32 s5, s4
	s_cbranch_execz .LBB2_119
; %bb.114:                              ;   in Loop: Header=BB2_64 Depth=4
	global_load_dwordx2 v[25:26], v44, s[6:7] offset:24 glc dlc
	s_waitcnt vmcnt(0)
	buffer_gl1_inv
	buffer_gl0_inv
	s_clause 0x1
	global_load_dwordx2 v[2:3], v44, s[6:7] offset:40
	global_load_dwordx2 v[23:24], v44, s[6:7]
	s_mov_b32 s14, exec_lo
	s_waitcnt vmcnt(1)
	v_and_b32_e32 v3, v3, v26
	v_and_b32_e32 v2, v2, v25
	v_mul_lo_u32 v3, v3, 24
	v_mul_hi_u32 v29, v2, 24
	v_mul_lo_u32 v2, v2, 24
	v_add_nc_u32_e32 v3, v29, v3
	s_waitcnt vmcnt(0)
	v_add_co_u32 v2, vcc_lo, v23, v2
	v_add_co_ci_u32_e64 v3, null, v24, v3, vcc_lo
	global_load_dwordx2 v[23:24], v[2:3], off glc dlc
	s_waitcnt vmcnt(0)
	global_atomic_cmpswap_x2 v[2:3], v44, v[23:26], s[6:7] offset:24 glc
	s_waitcnt vmcnt(0)
	buffer_gl1_inv
	buffer_gl0_inv
	v_cmpx_ne_u64_e64 v[2:3], v[25:26]
	s_cbranch_execz .LBB2_118
; %bb.115:                              ;   in Loop: Header=BB2_64 Depth=4
	s_mov_b32 s15, 0
	.p2align	6
.LBB2_116:                              ;   Parent Loop BB2_13 Depth=1
                                        ;     Parent Loop BB2_20 Depth=2
                                        ;       Parent Loop BB2_34 Depth=3
                                        ;         Parent Loop BB2_64 Depth=4
                                        ; =>        This Inner Loop Header: Depth=5
	s_sleep 1
	s_clause 0x1
	global_load_dwordx2 v[23:24], v44, s[6:7] offset:40
	global_load_dwordx2 v[29:30], v44, s[6:7]
	v_mov_b32_e32 v26, v3
	v_mov_b32_e32 v25, v2
	s_waitcnt vmcnt(1)
	v_and_b32_e32 v2, v23, v25
	v_and_b32_e32 v23, v24, v26
	s_waitcnt vmcnt(0)
	v_mad_u64_u32 v[2:3], null, v2, 24, v[29:30]
	v_mad_u64_u32 v[23:24], null, v23, 24, v[3:4]
	v_mov_b32_e32 v3, v23
	global_load_dwordx2 v[23:24], v[2:3], off glc dlc
	s_waitcnt vmcnt(0)
	global_atomic_cmpswap_x2 v[2:3], v44, v[23:26], s[6:7] offset:24 glc
	s_waitcnt vmcnt(0)
	buffer_gl1_inv
	buffer_gl0_inv
	v_cmp_eq_u64_e32 vcc_lo, v[2:3], v[25:26]
	s_or_b32 s15, vcc_lo, s15
	s_andn2_b32 exec_lo, exec_lo, s15
	s_cbranch_execnz .LBB2_116
; %bb.117:                              ;   in Loop: Header=BB2_64 Depth=4
	s_or_b32 exec_lo, exec_lo, s15
.LBB2_118:                              ;   in Loop: Header=BB2_64 Depth=4
	s_or_b32 exec_lo, exec_lo, s14
.LBB2_119:                              ;   in Loop: Header=BB2_64 Depth=4
	s_or_b32 exec_lo, exec_lo, s5
	s_clause 0x1
	global_load_dwordx2 v[29:30], v44, s[6:7] offset:40
	global_load_dwordx4 v[23:26], v44, s[6:7]
	v_readfirstlane_b32 s15, v3
	v_readfirstlane_b32 s14, v2
	s_mov_b32 s5, exec_lo
	s_waitcnt vmcnt(1)
	v_readfirstlane_b32 s16, v29
	v_readfirstlane_b32 s17, v30
	s_and_b64 s[16:17], s[16:17], s[14:15]
	s_mul_i32 s19, s17, 24
	s_mul_hi_u32 s20, s16, 24
	s_mul_i32 s21, s16, 24
	s_add_i32 s20, s20, s19
	s_waitcnt vmcnt(0)
	v_add_co_u32 v2, vcc_lo, v23, s21
	v_add_co_ci_u32_e64 v3, null, s20, v24, vcc_lo
	s_and_saveexec_b32 s19, s4
	s_cbranch_execz .LBB2_121
; %bb.120:                              ;   in Loop: Header=BB2_64 Depth=4
	v_mov_b32_e32 v43, s5
	global_store_dwordx4 v[2:3], v[43:46], off offset:8
.LBB2_121:                              ;   in Loop: Header=BB2_64 Depth=4
	s_or_b32 exec_lo, exec_lo, s19
	v_cmp_gt_u64_e64 s5, s[10:11], 56
	s_lshl_b64 s[16:17], s[16:17], 12
	v_and_b32_e32 v7, 0xffffff1f, v7
	v_add_co_u32 v25, vcc_lo, v25, s16
	v_add_co_ci_u32_e64 v26, null, s17, v26, vcc_lo
	s_and_b32 s5, s5, exec_lo
	s_cselect_b32 s5, 0, 2
	s_lshl_b32 s19, s12, 2
	v_or_b32_e32 v7, s5, v7
	v_readfirstlane_b32 s16, v25
	v_readfirstlane_b32 s17, v26
	s_add_i32 s19, s19, 28
	v_and_or_b32 v7, 0x1e0, s19, v7
	global_store_dwordx4 v28, v[11:14], s[16:17] offset:16
	global_store_dwordx4 v28, v[15:18], s[16:17] offset:32
	global_store_dwordx4 v28, v[7:10], s[16:17]
	global_store_dwordx4 v28, v[19:22], s[16:17] offset:48
	s_and_saveexec_b32 s5, s4
	s_cbranch_execz .LBB2_129
; %bb.122:                              ;   in Loop: Header=BB2_64 Depth=4
	s_clause 0x1
	global_load_dwordx2 v[15:16], v44, s[6:7] offset:32 glc dlc
	global_load_dwordx2 v[7:8], v44, s[6:7] offset:40
	v_mov_b32_e32 v13, s14
	v_mov_b32_e32 v14, s15
	s_waitcnt vmcnt(0)
	v_readfirstlane_b32 s16, v7
	v_readfirstlane_b32 s17, v8
	s_and_b64 s[16:17], s[16:17], s[14:15]
	s_mul_i32 s17, s17, 24
	s_mul_hi_u32 s19, s16, 24
	s_mul_i32 s16, s16, 24
	s_add_i32 s19, s19, s17
	v_add_co_u32 v11, vcc_lo, v23, s16
	v_add_co_ci_u32_e64 v12, null, s19, v24, vcc_lo
	s_mov_b32 s16, exec_lo
	global_store_dwordx2 v[11:12], v[15:16], off
	s_waitcnt_vscnt null, 0x0
	global_atomic_cmpswap_x2 v[9:10], v44, v[13:16], s[6:7] offset:32 glc
	s_waitcnt vmcnt(0)
	v_cmpx_ne_u64_e64 v[9:10], v[15:16]
	s_cbranch_execz .LBB2_125
; %bb.123:                              ;   in Loop: Header=BB2_64 Depth=4
	s_mov_b32 s17, 0
.LBB2_124:                              ;   Parent Loop BB2_13 Depth=1
                                        ;     Parent Loop BB2_20 Depth=2
                                        ;       Parent Loop BB2_34 Depth=3
                                        ;         Parent Loop BB2_64 Depth=4
                                        ; =>        This Inner Loop Header: Depth=5
	v_mov_b32_e32 v7, s14
	v_mov_b32_e32 v8, s15
	s_sleep 1
	global_store_dwordx2 v[11:12], v[9:10], off
	s_waitcnt_vscnt null, 0x0
	global_atomic_cmpswap_x2 v[7:8], v44, v[7:10], s[6:7] offset:32 glc
	s_waitcnt vmcnt(0)
	v_cmp_eq_u64_e32 vcc_lo, v[7:8], v[9:10]
	v_mov_b32_e32 v10, v8
	v_mov_b32_e32 v9, v7
	s_or_b32 s17, vcc_lo, s17
	s_andn2_b32 exec_lo, exec_lo, s17
	s_cbranch_execnz .LBB2_124
.LBB2_125:                              ;   in Loop: Header=BB2_64 Depth=4
	s_or_b32 exec_lo, exec_lo, s16
	global_load_dwordx2 v[7:8], v44, s[6:7] offset:16
	s_mov_b32 s17, exec_lo
	s_mov_b32 s16, exec_lo
	v_mbcnt_lo_u32_b32 v9, s17, 0
	v_cmpx_eq_u32_e32 0, v9
	s_cbranch_execz .LBB2_127
; %bb.126:                              ;   in Loop: Header=BB2_64 Depth=4
	s_bcnt1_i32_b32 s17, s17
	v_mov_b32_e32 v43, s17
	s_waitcnt vmcnt(0)
	global_atomic_add_x2 v[7:8], v[43:44], off offset:8
.LBB2_127:                              ;   in Loop: Header=BB2_64 Depth=4
	s_or_b32 exec_lo, exec_lo, s16
	s_waitcnt vmcnt(0)
	global_load_dwordx2 v[9:10], v[7:8], off offset:16
	s_waitcnt vmcnt(0)
	v_cmp_eq_u64_e32 vcc_lo, 0, v[9:10]
	s_cbranch_vccnz .LBB2_129
; %bb.128:                              ;   in Loop: Header=BB2_64 Depth=4
	global_load_dword v43, v[7:8], off offset:24
	s_waitcnt vmcnt(0)
	v_readfirstlane_b32 s16, v43
	s_waitcnt_vscnt null, 0x0
	global_store_dwordx2 v[9:10], v[43:44], off
	s_and_b32 m0, s16, 0x7fffff
	s_sendmsg sendmsg(MSG_INTERRUPT)
.LBB2_129:                              ;   in Loop: Header=BB2_64 Depth=4
	s_or_b32 exec_lo, exec_lo, s5
	v_add_co_u32 v7, vcc_lo, v25, v28
	v_add_co_ci_u32_e64 v8, null, 0, v26, vcc_lo
	s_branch .LBB2_133
	.p2align	6
.LBB2_130:                              ;   in Loop: Header=BB2_133 Depth=5
	s_or_b32 exec_lo, exec_lo, s5
	v_readfirstlane_b32 s5, v9
	s_cmp_eq_u32 s5, 0
	s_cbranch_scc1 .LBB2_132
; %bb.131:                              ;   in Loop: Header=BB2_133 Depth=5
	s_sleep 1
	s_cbranch_execnz .LBB2_133
	s_branch .LBB2_135
	.p2align	6
.LBB2_132:                              ;   in Loop: Header=BB2_64 Depth=4
	s_branch .LBB2_135
.LBB2_133:                              ;   Parent Loop BB2_13 Depth=1
                                        ;     Parent Loop BB2_20 Depth=2
                                        ;       Parent Loop BB2_34 Depth=3
                                        ;         Parent Loop BB2_64 Depth=4
                                        ; =>        This Inner Loop Header: Depth=5
	v_mov_b32_e32 v9, 1
	s_and_saveexec_b32 s5, s4
	s_cbranch_execz .LBB2_130
; %bb.134:                              ;   in Loop: Header=BB2_133 Depth=5
	global_load_dword v9, v[2:3], off offset:20 glc dlc
	s_waitcnt vmcnt(0)
	buffer_gl1_inv
	buffer_gl0_inv
	v_and_b32_e32 v9, 1, v9
	s_branch .LBB2_130
.LBB2_135:                              ;   in Loop: Header=BB2_64 Depth=4
	global_load_dwordx4 v[7:10], v[7:8], off
	s_and_saveexec_b32 s16, s4
	s_cbranch_execz .LBB2_63
; %bb.136:                              ;   in Loop: Header=BB2_64 Depth=4
	s_clause 0x2
	global_load_dwordx2 v[2:3], v44, s[6:7] offset:40
	global_load_dwordx2 v[13:14], v44, s[6:7] offset:24 glc dlc
	global_load_dwordx2 v[9:10], v44, s[6:7]
	s_waitcnt vmcnt(2)
	v_readfirstlane_b32 s20, v2
	v_readfirstlane_b32 s21, v3
	s_add_u32 s17, s20, 1
	s_addc_u32 s19, s21, 0
	s_add_u32 s4, s17, s14
	s_addc_u32 s5, s19, s15
	s_cmp_eq_u64 s[4:5], 0
	s_cselect_b32 s5, s19, s5
	s_cselect_b32 s4, s17, s4
	v_mov_b32_e32 v12, s5
	s_and_b64 s[14:15], s[4:5], s[20:21]
	v_mov_b32_e32 v11, s4
	s_mul_i32 s15, s15, 24
	s_mul_hi_u32 s17, s14, 24
	s_mul_i32 s14, s14, 24
	s_add_i32 s17, s17, s15
	s_waitcnt vmcnt(0)
	v_add_co_u32 v2, vcc_lo, v9, s14
	v_add_co_ci_u32_e64 v3, null, s17, v10, vcc_lo
	global_store_dwordx2 v[2:3], v[13:14], off
	s_waitcnt_vscnt null, 0x0
	global_atomic_cmpswap_x2 v[11:12], v44, v[11:14], s[6:7] offset:24 glc
	s_waitcnt vmcnt(0)
	v_cmp_ne_u64_e32 vcc_lo, v[11:12], v[13:14]
	s_and_b32 exec_lo, exec_lo, vcc_lo
	s_cbranch_execz .LBB2_63
; %bb.137:                              ;   in Loop: Header=BB2_64 Depth=4
	s_mov_b32 s14, 0
.LBB2_138:                              ;   Parent Loop BB2_13 Depth=1
                                        ;     Parent Loop BB2_20 Depth=2
                                        ;       Parent Loop BB2_34 Depth=3
                                        ;         Parent Loop BB2_64 Depth=4
                                        ; =>        This Inner Loop Header: Depth=5
	v_mov_b32_e32 v9, s4
	v_mov_b32_e32 v10, s5
	s_sleep 1
	global_store_dwordx2 v[2:3], v[11:12], off
	s_waitcnt_vscnt null, 0x0
	global_atomic_cmpswap_x2 v[9:10], v44, v[9:12], s[6:7] offset:24 glc
	s_waitcnt vmcnt(0)
	v_cmp_eq_u64_e32 vcc_lo, v[9:10], v[11:12]
	v_mov_b32_e32 v12, v10
	v_mov_b32_e32 v11, v9
	s_or_b32 s14, vcc_lo, s14
	s_andn2_b32 exec_lo, exec_lo, s14
	s_cbranch_execnz .LBB2_138
	s_branch .LBB2_63
.LBB2_139:                              ;   in Loop: Header=BB2_34 Depth=3
	s_branch .LBB2_167
.LBB2_140:                              ;   in Loop: Header=BB2_34 Depth=3
	s_cbranch_execz .LBB2_167
; %bb.141:                              ;   in Loop: Header=BB2_34 Depth=3
	v_readfirstlane_b32 s4, v83
	v_mov_b32_e32 v2, 0
	v_mov_b32_e32 v3, 0
	v_cmp_eq_u32_e64 s4, s4, v83
	s_and_saveexec_b32 s5, s4
	s_cbranch_execz .LBB2_147
; %bb.142:                              ;   in Loop: Header=BB2_34 Depth=3
	global_load_dwordx2 v[9:10], v44, s[6:7] offset:24 glc dlc
	s_waitcnt vmcnt(0)
	buffer_gl1_inv
	buffer_gl0_inv
	s_clause 0x1
	global_load_dwordx2 v[2:3], v44, s[6:7] offset:40
	global_load_dwordx2 v[7:8], v44, s[6:7]
	s_mov_b32 s8, exec_lo
	s_waitcnt vmcnt(1)
	v_and_b32_e32 v3, v3, v10
	v_and_b32_e32 v2, v2, v9
	v_mul_lo_u32 v3, v3, 24
	v_mul_hi_u32 v11, v2, 24
	v_mul_lo_u32 v2, v2, 24
	v_add_nc_u32_e32 v3, v11, v3
	s_waitcnt vmcnt(0)
	v_add_co_u32 v2, vcc_lo, v7, v2
	v_add_co_ci_u32_e64 v3, null, v8, v3, vcc_lo
	global_load_dwordx2 v[7:8], v[2:3], off glc dlc
	s_waitcnt vmcnt(0)
	global_atomic_cmpswap_x2 v[2:3], v44, v[7:10], s[6:7] offset:24 glc
	s_waitcnt vmcnt(0)
	buffer_gl1_inv
	buffer_gl0_inv
	v_cmpx_ne_u64_e64 v[2:3], v[9:10]
	s_cbranch_execz .LBB2_146
; %bb.143:                              ;   in Loop: Header=BB2_34 Depth=3
	s_mov_b32 s9, 0
	.p2align	6
.LBB2_144:                              ;   Parent Loop BB2_13 Depth=1
                                        ;     Parent Loop BB2_20 Depth=2
                                        ;       Parent Loop BB2_34 Depth=3
                                        ; =>      This Inner Loop Header: Depth=4
	s_sleep 1
	s_clause 0x1
	global_load_dwordx2 v[7:8], v44, s[6:7] offset:40
	global_load_dwordx2 v[11:12], v44, s[6:7]
	v_mov_b32_e32 v10, v3
	v_mov_b32_e32 v9, v2
	s_waitcnt vmcnt(1)
	v_and_b32_e32 v2, v7, v9
	v_and_b32_e32 v7, v8, v10
	s_waitcnt vmcnt(0)
	v_mad_u64_u32 v[2:3], null, v2, 24, v[11:12]
	v_mad_u64_u32 v[7:8], null, v7, 24, v[3:4]
	v_mov_b32_e32 v3, v7
	global_load_dwordx2 v[7:8], v[2:3], off glc dlc
	s_waitcnt vmcnt(0)
	global_atomic_cmpswap_x2 v[2:3], v44, v[7:10], s[6:7] offset:24 glc
	s_waitcnt vmcnt(0)
	buffer_gl1_inv
	buffer_gl0_inv
	v_cmp_eq_u64_e32 vcc_lo, v[2:3], v[9:10]
	s_or_b32 s9, vcc_lo, s9
	s_andn2_b32 exec_lo, exec_lo, s9
	s_cbranch_execnz .LBB2_144
; %bb.145:                              ;   in Loop: Header=BB2_34 Depth=3
	s_or_b32 exec_lo, exec_lo, s9
.LBB2_146:                              ;   in Loop: Header=BB2_34 Depth=3
	s_or_b32 exec_lo, exec_lo, s8
.LBB2_147:                              ;   in Loop: Header=BB2_34 Depth=3
	s_or_b32 exec_lo, exec_lo, s5
	s_clause 0x1
	global_load_dwordx2 v[7:8], v44, s[6:7] offset:40
	global_load_dwordx4 v[9:12], v44, s[6:7]
	v_readfirstlane_b32 s9, v3
	v_readfirstlane_b32 s8, v2
	s_mov_b32 s5, exec_lo
	s_waitcnt vmcnt(1)
	v_readfirstlane_b32 s10, v7
	v_readfirstlane_b32 s11, v8
	s_and_b64 s[10:11], s[10:11], s[8:9]
	s_mul_i32 s12, s11, 24
	s_mul_hi_u32 s13, s10, 24
	s_mul_i32 s14, s10, 24
	s_add_i32 s13, s13, s12
	s_waitcnt vmcnt(0)
	v_add_co_u32 v2, vcc_lo, v9, s14
	v_add_co_ci_u32_e64 v3, null, s13, v10, vcc_lo
	s_and_saveexec_b32 s12, s4
	s_cbranch_execz .LBB2_149
; %bb.148:                              ;   in Loop: Header=BB2_34 Depth=3
	v_mov_b32_e32 v43, s5
	global_store_dwordx4 v[2:3], v[43:46], off offset:8
.LBB2_149:                              ;   in Loop: Header=BB2_34 Depth=3
	s_or_b32 exec_lo, exec_lo, s12
	s_lshl_b64 s[10:11], s[10:11], 12
	s_mov_b32 s41, s40
	v_add_co_u32 v11, vcc_lo, v11, s10
	v_add_co_ci_u32_e64 v12, null, s11, v12, vcc_lo
	s_mov_b32 s42, s40
	s_mov_b32 s43, s40
	v_and_or_b32 v5, 0xffffff1d, v5, 34
	v_mov_b32_e32 v7, v44
	v_mov_b32_e32 v8, v44
	v_readfirstlane_b32 s10, v11
	v_readfirstlane_b32 s11, v12
	v_mov_b32_e32 v11, s40
	v_mov_b32_e32 v12, s41
	;; [unrolled: 1-line block ×4, first 2 shown]
	global_store_dwordx4 v28, v[5:8], s[10:11]
	global_store_dwordx4 v28, v[11:14], s[10:11] offset:16
	global_store_dwordx4 v28, v[11:14], s[10:11] offset:32
	;; [unrolled: 1-line block ×3, first 2 shown]
	s_and_saveexec_b32 s5, s4
	s_cbranch_execz .LBB2_157
; %bb.150:                              ;   in Loop: Header=BB2_34 Depth=3
	s_clause 0x1
	global_load_dwordx2 v[13:14], v44, s[6:7] offset:32 glc dlc
	global_load_dwordx2 v[5:6], v44, s[6:7] offset:40
	v_mov_b32_e32 v11, s8
	v_mov_b32_e32 v12, s9
	s_waitcnt vmcnt(0)
	v_readfirstlane_b32 s10, v5
	v_readfirstlane_b32 s11, v6
	s_and_b64 s[10:11], s[10:11], s[8:9]
	s_mul_i32 s11, s11, 24
	s_mul_hi_u32 s12, s10, 24
	s_mul_i32 s10, s10, 24
	s_add_i32 s12, s12, s11
	v_add_co_u32 v9, vcc_lo, v9, s10
	v_add_co_ci_u32_e64 v10, null, s12, v10, vcc_lo
	s_mov_b32 s10, exec_lo
	global_store_dwordx2 v[9:10], v[13:14], off
	s_waitcnt_vscnt null, 0x0
	global_atomic_cmpswap_x2 v[7:8], v44, v[11:14], s[6:7] offset:32 glc
	s_waitcnt vmcnt(0)
	v_cmpx_ne_u64_e64 v[7:8], v[13:14]
	s_cbranch_execz .LBB2_153
; %bb.151:                              ;   in Loop: Header=BB2_34 Depth=3
	s_mov_b32 s11, 0
.LBB2_152:                              ;   Parent Loop BB2_13 Depth=1
                                        ;     Parent Loop BB2_20 Depth=2
                                        ;       Parent Loop BB2_34 Depth=3
                                        ; =>      This Inner Loop Header: Depth=4
	v_mov_b32_e32 v5, s8
	v_mov_b32_e32 v6, s9
	s_sleep 1
	global_store_dwordx2 v[9:10], v[7:8], off
	s_waitcnt_vscnt null, 0x0
	global_atomic_cmpswap_x2 v[5:6], v44, v[5:8], s[6:7] offset:32 glc
	s_waitcnt vmcnt(0)
	v_cmp_eq_u64_e32 vcc_lo, v[5:6], v[7:8]
	v_mov_b32_e32 v8, v6
	v_mov_b32_e32 v7, v5
	s_or_b32 s11, vcc_lo, s11
	s_andn2_b32 exec_lo, exec_lo, s11
	s_cbranch_execnz .LBB2_152
.LBB2_153:                              ;   in Loop: Header=BB2_34 Depth=3
	s_or_b32 exec_lo, exec_lo, s10
	global_load_dwordx2 v[5:6], v44, s[6:7] offset:16
	s_mov_b32 s11, exec_lo
	s_mov_b32 s10, exec_lo
	v_mbcnt_lo_u32_b32 v7, s11, 0
	v_cmpx_eq_u32_e32 0, v7
	s_cbranch_execz .LBB2_155
; %bb.154:                              ;   in Loop: Header=BB2_34 Depth=3
	s_bcnt1_i32_b32 s11, s11
	v_mov_b32_e32 v43, s11
	s_waitcnt vmcnt(0)
	global_atomic_add_x2 v[5:6], v[43:44], off offset:8
.LBB2_155:                              ;   in Loop: Header=BB2_34 Depth=3
	s_or_b32 exec_lo, exec_lo, s10
	s_waitcnt vmcnt(0)
	global_load_dwordx2 v[7:8], v[5:6], off offset:16
	s_waitcnt vmcnt(0)
	v_cmp_eq_u64_e32 vcc_lo, 0, v[7:8]
	s_cbranch_vccnz .LBB2_157
; %bb.156:                              ;   in Loop: Header=BB2_34 Depth=3
	global_load_dword v43, v[5:6], off offset:24
	s_waitcnt vmcnt(0)
	v_readfirstlane_b32 s10, v43
	s_waitcnt_vscnt null, 0x0
	global_store_dwordx2 v[7:8], v[43:44], off
	s_and_b32 m0, s10, 0x7fffff
	s_sendmsg sendmsg(MSG_INTERRUPT)
.LBB2_157:                              ;   in Loop: Header=BB2_34 Depth=3
	s_or_b32 exec_lo, exec_lo, s5
	s_branch .LBB2_161
	.p2align	6
.LBB2_158:                              ;   in Loop: Header=BB2_161 Depth=4
	s_or_b32 exec_lo, exec_lo, s5
	v_readfirstlane_b32 s5, v5
	s_cmp_eq_u32 s5, 0
	s_cbranch_scc1 .LBB2_160
; %bb.159:                              ;   in Loop: Header=BB2_161 Depth=4
	s_sleep 1
	s_cbranch_execnz .LBB2_161
	s_branch .LBB2_163
	.p2align	6
.LBB2_160:                              ;   in Loop: Header=BB2_34 Depth=3
	s_branch .LBB2_163
.LBB2_161:                              ;   Parent Loop BB2_13 Depth=1
                                        ;     Parent Loop BB2_20 Depth=2
                                        ;       Parent Loop BB2_34 Depth=3
                                        ; =>      This Inner Loop Header: Depth=4
	v_mov_b32_e32 v5, 1
	s_and_saveexec_b32 s5, s4
	s_cbranch_execz .LBB2_158
; %bb.162:                              ;   in Loop: Header=BB2_161 Depth=4
	global_load_dword v5, v[2:3], off offset:20 glc dlc
	s_waitcnt vmcnt(0)
	buffer_gl1_inv
	buffer_gl0_inv
	v_and_b32_e32 v5, 1, v5
	s_branch .LBB2_158
.LBB2_163:                              ;   in Loop: Header=BB2_34 Depth=3
	s_and_b32 exec_lo, exec_lo, s4
	s_cbranch_execz .LBB2_167
; %bb.164:                              ;   in Loop: Header=BB2_34 Depth=3
	s_clause 0x2
	global_load_dwordx2 v[2:3], v44, s[6:7] offset:40
	global_load_dwordx2 v[9:10], v44, s[6:7] offset:24 glc dlc
	global_load_dwordx2 v[5:6], v44, s[6:7]
	s_waitcnt vmcnt(2)
	v_readfirstlane_b32 s10, v2
	v_readfirstlane_b32 s11, v3
	s_add_u32 s12, s10, 1
	s_addc_u32 s13, s11, 0
	s_add_u32 s4, s12, s8
	s_addc_u32 s5, s13, s9
	s_cmp_eq_u64 s[4:5], 0
	s_cselect_b32 s5, s13, s5
	s_cselect_b32 s4, s12, s4
	v_mov_b32_e32 v8, s5
	s_and_b64 s[8:9], s[4:5], s[10:11]
	v_mov_b32_e32 v7, s4
	s_mul_i32 s9, s9, 24
	s_mul_hi_u32 s10, s8, 24
	s_mul_i32 s8, s8, 24
	s_add_i32 s10, s10, s9
	s_waitcnt vmcnt(0)
	v_add_co_u32 v2, vcc_lo, v5, s8
	v_add_co_ci_u32_e64 v3, null, s10, v6, vcc_lo
	global_store_dwordx2 v[2:3], v[9:10], off
	s_waitcnt_vscnt null, 0x0
	global_atomic_cmpswap_x2 v[7:8], v44, v[7:10], s[6:7] offset:24 glc
	s_waitcnt vmcnt(0)
	v_cmp_ne_u64_e32 vcc_lo, v[7:8], v[9:10]
	s_and_b32 exec_lo, exec_lo, vcc_lo
	s_cbranch_execz .LBB2_167
; %bb.165:                              ;   in Loop: Header=BB2_34 Depth=3
	s_mov_b32 s8, 0
.LBB2_166:                              ;   Parent Loop BB2_13 Depth=1
                                        ;     Parent Loop BB2_20 Depth=2
                                        ;       Parent Loop BB2_34 Depth=3
                                        ; =>      This Inner Loop Header: Depth=4
	v_mov_b32_e32 v5, s4
	v_mov_b32_e32 v6, s5
	s_sleep 1
	global_store_dwordx2 v[2:3], v[7:8], off
	s_waitcnt_vscnt null, 0x0
	global_atomic_cmpswap_x2 v[5:6], v44, v[5:8], s[6:7] offset:24 glc
	s_waitcnt vmcnt(0)
	v_cmp_eq_u64_e32 vcc_lo, v[5:6], v[7:8]
	v_mov_b32_e32 v8, v6
	v_mov_b32_e32 v7, v5
	s_or_b32 s8, vcc_lo, s8
	s_andn2_b32 exec_lo, exec_lo, s8
	s_cbranch_execnz .LBB2_166
.LBB2_167:                              ;   in Loop: Header=BB2_34 Depth=3
	s_or_b32 exec_lo, exec_lo, s18
	v_add_co_u32 v2, vcc_lo, v91, v27
	v_add_co_ci_u32_e64 v3, null, 0, v92, vcc_lo
	s_mov_b32 s5, exec_lo
	global_load_ubyte v5, v[2:3], off
	s_waitcnt vmcnt(0)
	v_cmpx_ne_u16_e32 0x4e, v5
	s_cbranch_execz .LBB2_33
; %bb.168:                              ;   in Loop: Header=BB2_34 Depth=3
	v_add_co_u32 v2, vcc_lo, v93, v27
	v_add_co_ci_u32_e64 v3, null, 0, v94, vcc_lo
	s_mov_b32 s6, exec_lo
	global_load_sbyte v2, v[2:3], off
	s_waitcnt vmcnt(0)
	v_subrev_nc_u32_e32 v6, s50, v2
	v_cmpx_lt_i32_e32 9, v6
	s_cbranch_execz .LBB2_173
; %bb.169:                              ;   in Loop: Header=BB2_34 Depth=3
	s_mov_b32 s7, 0
	s_mov_b32 s4, exec_lo
                                        ; implicit-def: $vgpr2_vgpr3
	v_cmpx_lt_i16_e32 0x46, v5
	s_xor_b32 s4, exec_lo, s4
	s_cbranch_execnz .LBB2_177
; %bb.170:                              ;   in Loop: Header=BB2_34 Depth=3
	s_andn2_saveexec_b32 s8, s4
	s_cbranch_execnz .LBB2_186
.LBB2_171:                              ;   in Loop: Header=BB2_34 Depth=3
	s_or_b32 exec_lo, exec_lo, s8
	s_and_b32 exec_lo, exec_lo, s7
	s_cbranch_execz .LBB2_173
.LBB2_172:                              ;   in Loop: Header=BB2_34 Depth=3
	flat_atomic_add v[2:3], v46
.LBB2_173:                              ;   in Loop: Header=BB2_34 Depth=3
	s_or_b32 exec_lo, exec_lo, s6
	v_cmp_lt_i32_e32 vcc_lo, 19, v6
	s_and_b32 exec_lo, exec_lo, vcc_lo
	s_cbranch_execz .LBB2_33
; %bb.174:                              ;   in Loop: Header=BB2_34 Depth=3
	s_mov_b32 s6, 0
	s_mov_b32 s4, exec_lo
                                        ; implicit-def: $vgpr2_vgpr3
	v_cmpx_lt_i16_e32 0x46, v5
	s_xor_b32 s4, exec_lo, s4
	s_cbranch_execnz .LBB2_193
; %bb.175:                              ;   in Loop: Header=BB2_34 Depth=3
	s_andn2_saveexec_b32 s7, s4
	s_cbranch_execnz .LBB2_202
.LBB2_176:                              ;   in Loop: Header=BB2_34 Depth=3
	s_or_b32 exec_lo, exec_lo, s7
	s_and_b32 exec_lo, exec_lo, s6
	s_cbranch_execz .LBB2_33
	s_branch .LBB2_209
.LBB2_177:                              ;   in Loop: Header=BB2_34 Depth=3
	s_mov_b32 s8, exec_lo
                                        ; implicit-def: $vgpr2_vgpr3
	v_cmpx_lt_i16_e32 0x53, v5
	s_xor_b32 s8, exec_lo, s8
	s_cbranch_execz .LBB2_181
; %bb.178:                              ;   in Loop: Header=BB2_34 Depth=3
	s_mov_b32 s9, exec_lo
                                        ; implicit-def: $vgpr2_vgpr3
	v_cmpx_eq_u16_e32 0x54, v5
; %bb.179:                              ;   in Loop: Header=BB2_34 Depth=3
	v_add_co_u32 v2, vcc_lo, v0, 44
	s_mov_b32 s7, exec_lo
	v_add_co_ci_u32_e64 v3, null, 0, v1, vcc_lo
; %bb.180:                              ;   in Loop: Header=BB2_34 Depth=3
	s_or_b32 exec_lo, exec_lo, s9
	s_and_b32 s7, s7, exec_lo
.LBB2_181:                              ;   in Loop: Header=BB2_34 Depth=3
	s_andn2_saveexec_b32 s8, s8
	s_cbranch_execz .LBB2_185
; %bb.182:                              ;   in Loop: Header=BB2_34 Depth=3
	s_mov_b32 s9, s7
	s_mov_b32 s10, exec_lo
                                        ; implicit-def: $vgpr2_vgpr3
	v_cmpx_eq_u16_e32 0x47, v5
; %bb.183:                              ;   in Loop: Header=BB2_34 Depth=3
	v_add_co_u32 v2, vcc_lo, v0, 40
	v_add_co_ci_u32_e64 v3, null, 0, v1, vcc_lo
	s_or_b32 s9, s7, exec_lo
; %bb.184:                              ;   in Loop: Header=BB2_34 Depth=3
	s_or_b32 exec_lo, exec_lo, s10
	s_andn2_b32 s7, s7, exec_lo
	s_and_b32 s9, s9, exec_lo
	s_or_b32 s7, s7, s9
.LBB2_185:                              ;   in Loop: Header=BB2_34 Depth=3
	s_or_b32 exec_lo, exec_lo, s8
	s_and_b32 s7, s7, exec_lo
	s_andn2_saveexec_b32 s8, s4
	s_cbranch_execz .LBB2_171
.LBB2_186:                              ;   in Loop: Header=BB2_34 Depth=3
	s_mov_b32 s9, s7
	s_mov_b32 s4, exec_lo
                                        ; implicit-def: $vgpr2_vgpr3
	v_cmpx_lt_i16_e32 0x42, v5
	s_xor_b32 s4, exec_lo, s4
	s_cbranch_execz .LBB2_190
; %bb.187:                              ;   in Loop: Header=BB2_34 Depth=3
	s_mov_b32 s9, s7
	s_mov_b32 s10, exec_lo
                                        ; implicit-def: $vgpr2_vgpr3
	v_cmpx_eq_u16_e32 0x43, v5
; %bb.188:                              ;   in Loop: Header=BB2_34 Depth=3
	v_add_co_u32 v2, vcc_lo, v0, 36
	v_add_co_ci_u32_e64 v3, null, 0, v1, vcc_lo
	s_or_b32 s9, s7, exec_lo
; %bb.189:                              ;   in Loop: Header=BB2_34 Depth=3
	s_or_b32 exec_lo, exec_lo, s10
	s_andn2_b32 s10, s7, exec_lo
	s_and_b32 s9, s9, exec_lo
	s_or_b32 s9, s10, s9
.LBB2_190:                              ;   in Loop: Header=BB2_34 Depth=3
	s_andn2_saveexec_b32 s10, s4
; %bb.191:                              ;   in Loop: Header=BB2_34 Depth=3
	v_cmp_eq_u16_e32 vcc_lo, 0x41, v5
	v_add_co_u32 v2, s4, v0, 32
	v_add_co_ci_u32_e64 v3, null, 0, v1, s4
	s_andn2_b32 s4, s9, exec_lo
	s_and_b32 s9, vcc_lo, exec_lo
	s_or_b32 s9, s4, s9
; %bb.192:                              ;   in Loop: Header=BB2_34 Depth=3
	s_or_b32 exec_lo, exec_lo, s10
	s_andn2_b32 s4, s7, exec_lo
	s_and_b32 s7, s9, exec_lo
	s_or_b32 s7, s4, s7
	s_or_b32 exec_lo, exec_lo, s8
	s_and_b32 exec_lo, exec_lo, s7
	s_cbranch_execnz .LBB2_172
	s_branch .LBB2_173
.LBB2_193:                              ;   in Loop: Header=BB2_34 Depth=3
	s_mov_b32 s7, exec_lo
                                        ; implicit-def: $vgpr2_vgpr3
	v_cmpx_lt_i16_e32 0x53, v5
	s_xor_b32 s7, exec_lo, s7
	s_cbranch_execz .LBB2_197
; %bb.194:                              ;   in Loop: Header=BB2_34 Depth=3
	s_mov_b32 s8, exec_lo
                                        ; implicit-def: $vgpr2_vgpr3
	v_cmpx_eq_u16_e32 0x54, v5
; %bb.195:                              ;   in Loop: Header=BB2_34 Depth=3
	v_add_co_u32 v2, vcc_lo, v0, 28
	s_mov_b32 s6, exec_lo
	v_add_co_ci_u32_e64 v3, null, 0, v1, vcc_lo
; %bb.196:                              ;   in Loop: Header=BB2_34 Depth=3
	s_or_b32 exec_lo, exec_lo, s8
	s_and_b32 s6, s6, exec_lo
                                        ; implicit-def: $vgpr5
                                        ; implicit-def: $vgpr0
                                        ; implicit-def: $vgpr1
.LBB2_197:                              ;   in Loop: Header=BB2_34 Depth=3
	s_andn2_saveexec_b32 s7, s7
	s_cbranch_execz .LBB2_201
; %bb.198:                              ;   in Loop: Header=BB2_34 Depth=3
	s_mov_b32 s8, s6
	s_mov_b32 s9, exec_lo
                                        ; implicit-def: $vgpr2_vgpr3
	v_cmpx_eq_u16_e32 0x47, v5
; %bb.199:                              ;   in Loop: Header=BB2_34 Depth=3
	v_add_co_u32 v2, vcc_lo, v0, 24
	v_add_co_ci_u32_e64 v3, null, 0, v1, vcc_lo
	s_or_b32 s8, s6, exec_lo
; %bb.200:                              ;   in Loop: Header=BB2_34 Depth=3
	s_or_b32 exec_lo, exec_lo, s9
	s_andn2_b32 s6, s6, exec_lo
	s_and_b32 s8, s8, exec_lo
	s_or_b32 s6, s6, s8
.LBB2_201:                              ;   in Loop: Header=BB2_34 Depth=3
	s_or_b32 exec_lo, exec_lo, s7
	s_and_b32 s6, s6, exec_lo
                                        ; implicit-def: $vgpr0
                                        ; implicit-def: $vgpr1
                                        ; implicit-def: $vgpr5
	s_andn2_saveexec_b32 s7, s4
	s_cbranch_execz .LBB2_176
.LBB2_202:                              ;   in Loop: Header=BB2_34 Depth=3
	s_mov_b32 s8, s6
	s_mov_b32 s4, exec_lo
                                        ; implicit-def: $vgpr2_vgpr3
	v_cmpx_lt_i16_e32 0x42, v5
	s_xor_b32 s4, exec_lo, s4
	s_cbranch_execz .LBB2_206
; %bb.203:                              ;   in Loop: Header=BB2_34 Depth=3
	s_mov_b32 s8, s6
	s_mov_b32 s9, exec_lo
                                        ; implicit-def: $vgpr2_vgpr3
	v_cmpx_eq_u16_e32 0x43, v5
; %bb.204:                              ;   in Loop: Header=BB2_34 Depth=3
	v_add_co_u32 v2, vcc_lo, v0, 20
	v_add_co_ci_u32_e64 v3, null, 0, v1, vcc_lo
	s_or_b32 s8, s6, exec_lo
; %bb.205:                              ;   in Loop: Header=BB2_34 Depth=3
	s_or_b32 exec_lo, exec_lo, s9
	s_andn2_b32 s9, s6, exec_lo
	s_and_b32 s8, s8, exec_lo
                                        ; implicit-def: $vgpr0
                                        ; implicit-def: $vgpr1
                                        ; implicit-def: $vgpr5
	s_or_b32 s8, s9, s8
.LBB2_206:                              ;   in Loop: Header=BB2_34 Depth=3
	s_andn2_saveexec_b32 s9, s4
; %bb.207:                              ;   in Loop: Header=BB2_34 Depth=3
	v_cmp_eq_u16_e32 vcc_lo, 0x41, v5
	v_add_co_u32 v2, s4, v0, 16
	v_add_co_ci_u32_e64 v3, null, 0, v1, s4
	s_andn2_b32 s4, s8, exec_lo
	s_and_b32 s8, vcc_lo, exec_lo
	s_or_b32 s8, s4, s8
; %bb.208:                              ;   in Loop: Header=BB2_34 Depth=3
	s_or_b32 exec_lo, exec_lo, s9
	s_andn2_b32 s4, s6, exec_lo
	s_and_b32 s6, s8, exec_lo
	s_or_b32 s6, s4, s6
	s_or_b32 exec_lo, exec_lo, s7
	s_and_b32 exec_lo, exec_lo, s6
	s_cbranch_execz .LBB2_33
.LBB2_209:                              ;   in Loop: Header=BB2_34 Depth=3
	flat_atomic_add v[2:3], v46
	s_branch .LBB2_33
.LBB2_210:                              ;   in Loop: Header=BB2_13 Depth=1
	s_or_b32 exec_lo, exec_lo, s63
; %bb.211:                              ;   in Loop: Header=BB2_13 Depth=1
	s_and_saveexec_b32 s18, s36
	s_cbranch_execz .LBB2_558
; %bb.212:                              ;   in Loop: Header=BB2_13 Depth=1
	v_mov_b32_e32 v27, v67
	s_mov_b32 s19, 0
	s_branch .LBB2_214
.LBB2_213:                              ;   in Loop: Header=BB2_214 Depth=2
	s_or_b32 exec_lo, exec_lo, s20
	v_add_nc_u32_e32 v27, 64, v27
	v_cmp_ge_u32_e32 vcc_lo, v27, v42
	s_or_b32 s19, vcc_lo, s19
	s_andn2_b32 exec_lo, exec_lo, s19
	s_cbranch_execz .LBB2_558
.LBB2_214:                              ;   Parent Loop BB2_13 Depth=1
                                        ; =>  This Loop Header: Depth=2
                                        ;       Child Loop BB2_323 Depth 3
                                        ;       Child Loop BB2_331 Depth 3
	;; [unrolled: 1-line block ×9, first 2 shown]
                                        ;         Child Loop BB2_424 Depth 4
                                        ;         Child Loop BB2_431 Depth 4
                                        ;         Child Loop BB2_438 Depth 4
                                        ;         Child Loop BB2_445 Depth 4
                                        ;         Child Loop BB2_452 Depth 4
                                        ;         Child Loop BB2_459 Depth 4
                                        ;         Child Loop BB2_466 Depth 4
                                        ;         Child Loop BB2_473 Depth 4
                                        ;         Child Loop BB2_481 Depth 4
                                        ;         Child Loop BB2_490 Depth 4
                                        ;         Child Loop BB2_495 Depth 4
	v_mad_u64_u32 v[25:26], null, v27, 56, v[40:41]
	s_mov_b32 s20, exec_lo
	global_load_dword v0, v[25:26], off offset:8
	s_waitcnt vmcnt(0)
	v_cmpx_ne_u32_e32 -1, v0
	s_cbranch_execz .LBB2_213
; %bb.215:                              ;   in Loop: Header=BB2_214 Depth=2
	s_clause 0x1
	global_load_dwordx4 v[0:3], v[25:26], off offset:32
	global_load_dwordx4 v[5:8], v[25:26], off offset:16
	v_mov_b32_e32 v9, 0x41
	v_mov_b32_e32 v10, 0x43
	;; [unrolled: 1-line block ×4, first 2 shown]
	s_mov_b32 s6, exec_lo
	buffer_store_byte v9, off, s[0:3], 0 offset:16
	buffer_store_byte v10, off, s[0:3], 0 offset:32
	;; [unrolled: 1-line block ×3, first 2 shown]
	s_waitcnt vmcnt(0)
	buffer_store_dword v5, off, s[0:3], 0 offset:20
	buffer_store_dword v0, off, s[0:3], 0 offset:24
	buffer_store_dword v6, off, s[0:3], 0 offset:36
	buffer_store_dword v1, off, s[0:3], 0 offset:40
	buffer_store_dword v7, off, s[0:3], 0 offset:52
	v_mov_b32_e32 v14, v3
	v_mov_b32_e32 v15, v2
	;; [unrolled: 1-line block ×4, first 2 shown]
	buffer_store_dword v2, off, s[0:3], 0 offset:56
	buffer_store_byte v12, off, s[0:3], 0 offset:64
	buffer_store_dword v8, off, s[0:3], 0 offset:68
	buffer_store_dword v3, off, s[0:3], 0 offset:72
	v_cmpx_lt_u32_e32 1, v0
	s_cbranch_execz .LBB2_229
; %bb.216:                              ;   in Loop: Header=BB2_214 Depth=2
	v_cvt_f64_u32_e32 v[11:12], v0
	v_mov_b32_e32 v13, 2
	s_mov_b32 s7, exec_lo
	v_cmpx_ngt_f64_e32 v[71:72], v[11:12]
	s_cbranch_execz .LBB2_228
; %bb.217:                              ;   in Loop: Header=BB2_214 Depth=2
	v_cvt_f64_u32_e32 v[9:10], v5
	v_cmp_ngt_f64_e32 vcc_lo, v[73:74], v[11:12]
	v_cmp_nle_f64_e64 s4, v[71:72], v[11:12]
	v_mov_b32_e32 v13, 3
	v_cmp_ngt_f64_e64 s5, v[71:72], v[9:10]
	s_or_b32 s4, vcc_lo, s4
	s_or_b32 s8, s4, s5
	s_and_saveexec_b32 s5, s8
	s_cbranch_execz .LBB2_227
; %bb.218:                              ;   in Loop: Header=BB2_214 Depth=2
	v_cmp_nle_f64_e32 vcc_lo, v[71:72], v[9:10]
	v_mov_b32_e32 v13, 4
	s_or_b32 s4, s4, vcc_lo
	s_and_saveexec_b32 s8, s4
	s_cbranch_execz .LBB2_226
; %bb.219:                              ;   in Loop: Header=BB2_214 Depth=2
	v_cmp_nle_f64_e64 s10, v[73:74], v[11:12]
	v_cmp_ngt_f64_e64 s4, v[71:72], v[9:10]
	v_mov_b32_e32 v13, 5
	v_cmp_le_f64_e32 vcc_lo, v[73:74], v[11:12]
	s_or_b32 s4, s10, s4
	s_and_saveexec_b32 s9, s4
	s_cbranch_execz .LBB2_225
; %bb.220:                              ;   in Loop: Header=BB2_214 Depth=2
	s_and_saveexec_b32 s11, vcc_lo
	s_cbranch_execz .LBB2_222
; %bb.221:                              ;   in Loop: Header=BB2_214 Depth=2
	v_cmp_nlt_f64_e32 vcc_lo, v[71:72], v[9:10]
	v_cmp_ngt_f64_e64 s4, v[73:74], v[9:10]
	s_andn2_b32 s10, s10, exec_lo
	s_or_b32 s4, vcc_lo, s4
	s_and_b32 s4, s4, exec_lo
	s_or_b32 s10, s10, s4
.LBB2_222:                              ;   in Loop: Header=BB2_214 Depth=2
	s_or_b32 exec_lo, exec_lo, s11
	v_mov_b32_e32 v13, 6
	s_and_saveexec_b32 s4, s10
; %bb.223:                              ;   in Loop: Header=BB2_214 Depth=2
	v_mov_b32_e32 v13, 7
; %bb.224:                              ;   in Loop: Header=BB2_214 Depth=2
	s_or_b32 exec_lo, exec_lo, s4
.LBB2_225:                              ;   in Loop: Header=BB2_214 Depth=2
	s_or_b32 exec_lo, exec_lo, s9
.LBB2_226:                              ;   in Loop: Header=BB2_214 Depth=2
	s_or_b32 exec_lo, exec_lo, s8
.LBB2_227:                              ;   in Loop: Header=BB2_214 Depth=2
	s_or_b32 exec_lo, exec_lo, s5
.LBB2_228:                              ;   in Loop: Header=BB2_214 Depth=2
	s_or_b32 exec_lo, exec_lo, s7
.LBB2_229:                              ;   in Loop: Header=BB2_214 Depth=2
	s_or_b32 exec_lo, exec_lo, s6
	s_mov_b32 s6, exec_lo
	buffer_store_dword v13, off, s[0:3], 0 offset:28
	v_cmpx_lt_u32_e32 1, v1
	s_cbranch_execz .LBB2_243
; %bb.230:                              ;   in Loop: Header=BB2_214 Depth=2
	v_cvt_f64_u32_e32 v[11:12], v1
	v_mov_b32_e32 v16, 2
	s_mov_b32 s7, exec_lo
	v_cmpx_ngt_f64_e32 v[71:72], v[11:12]
	s_cbranch_execz .LBB2_242
; %bb.231:                              ;   in Loop: Header=BB2_214 Depth=2
	v_cvt_f64_u32_e32 v[9:10], v6
	v_cmp_ngt_f64_e32 vcc_lo, v[73:74], v[11:12]
	v_cmp_nle_f64_e64 s4, v[71:72], v[11:12]
	v_mov_b32_e32 v16, 3
	v_cmp_ngt_f64_e64 s5, v[71:72], v[9:10]
	s_or_b32 s4, vcc_lo, s4
	s_or_b32 s8, s4, s5
	s_and_saveexec_b32 s5, s8
	s_cbranch_execz .LBB2_241
; %bb.232:                              ;   in Loop: Header=BB2_214 Depth=2
	v_cmp_nle_f64_e32 vcc_lo, v[71:72], v[9:10]
	v_mov_b32_e32 v16, 4
	s_or_b32 s4, s4, vcc_lo
	s_and_saveexec_b32 s8, s4
	s_cbranch_execz .LBB2_240
; %bb.233:                              ;   in Loop: Header=BB2_214 Depth=2
	v_cmp_nle_f64_e64 s10, v[73:74], v[11:12]
	v_cmp_ngt_f64_e64 s4, v[71:72], v[9:10]
	v_mov_b32_e32 v16, 5
	v_cmp_le_f64_e32 vcc_lo, v[73:74], v[11:12]
	s_or_b32 s4, s10, s4
	s_and_saveexec_b32 s9, s4
	s_cbranch_execz .LBB2_239
; %bb.234:                              ;   in Loop: Header=BB2_214 Depth=2
	s_and_saveexec_b32 s11, vcc_lo
	s_cbranch_execz .LBB2_236
; %bb.235:                              ;   in Loop: Header=BB2_214 Depth=2
	v_cmp_nlt_f64_e32 vcc_lo, v[71:72], v[9:10]
	v_cmp_ngt_f64_e64 s4, v[73:74], v[9:10]
	s_andn2_b32 s10, s10, exec_lo
	s_or_b32 s4, vcc_lo, s4
	s_and_b32 s4, s4, exec_lo
	s_or_b32 s10, s10, s4
.LBB2_236:                              ;   in Loop: Header=BB2_214 Depth=2
	s_or_b32 exec_lo, exec_lo, s11
	v_mov_b32_e32 v16, 6
	s_and_saveexec_b32 s4, s10
; %bb.237:                              ;   in Loop: Header=BB2_214 Depth=2
	v_mov_b32_e32 v16, 7
; %bb.238:                              ;   in Loop: Header=BB2_214 Depth=2
	s_or_b32 exec_lo, exec_lo, s4
.LBB2_239:                              ;   in Loop: Header=BB2_214 Depth=2
	s_or_b32 exec_lo, exec_lo, s9
.LBB2_240:                              ;   in Loop: Header=BB2_214 Depth=2
	s_or_b32 exec_lo, exec_lo, s8
.LBB2_241:                              ;   in Loop: Header=BB2_214 Depth=2
	s_or_b32 exec_lo, exec_lo, s5
.LBB2_242:                              ;   in Loop: Header=BB2_214 Depth=2
	s_or_b32 exec_lo, exec_lo, s7
.LBB2_243:                              ;   in Loop: Header=BB2_214 Depth=2
	s_or_b32 exec_lo, exec_lo, s6
	s_mov_b32 s6, exec_lo
	;; [unrolled: 62-line block ×4, first 2 shown]
	buffer_store_dword v14, off, s[0:3], 0 offset:76
                                        ; implicit-def: $sgpr4
	v_cmpx_ne_u32_e64 v13, v16
	s_xor_b32 s5, exec_lo, s5
	s_cbranch_execnz .LBB2_342
; %bb.272:                              ;   in Loop: Header=BB2_214 Depth=2
	s_andn2_saveexec_b32 s5, s5
	s_cbranch_execnz .LBB2_343
.LBB2_273:                              ;   in Loop: Header=BB2_214 Depth=2
	s_or_b32 exec_lo, exec_lo, s5
	s_and_saveexec_b32 s5, s4
	s_cbranch_execz .LBB2_275
.LBB2_274:                              ;   in Loop: Header=BB2_214 Depth=2
	v_mov_b32_e32 v0, s51
	s_clause 0x7
	buffer_load_dword v1, off, s[0:3], 0 offset:16
	buffer_load_dword v5, off, s[0:3], 0 offset:20
	;; [unrolled: 1-line block ×3, first 2 shown]
	buffer_load_dword v9, v0, s[0:3], 0 offen
	buffer_load_dword v10, v0, s[0:3], 0 offen offset:4
	buffer_load_dword v11, v0, s[0:3], 0 offen offset:8
	;; [unrolled: 1-line block ×3, first 2 shown]
	buffer_load_dword v12, off, s[0:3], 0 offset:28
	s_waitcnt vmcnt(7)
	buffer_store_dword v1, v0, s[0:3], 0 offen
	s_waitcnt vmcnt(6)
	buffer_store_dword v5, v0, s[0:3], 0 offen offset:4
	s_waitcnt vmcnt(5)
	buffer_store_dword v6, v0, s[0:3], 0 offen offset:8
	s_waitcnt vmcnt(4)
	buffer_store_dword v9, off, s[0:3], 0 offset:16
	s_waitcnt vmcnt(3)
	buffer_store_dword v10, off, s[0:3], 0 offset:20
	;; [unrolled: 2-line block ×4, first 2 shown]
	s_waitcnt vmcnt(0)
	buffer_store_dword v12, v0, s[0:3], 0 offen offset:12
.LBB2_275:                              ;   in Loop: Header=BB2_214 Depth=2
	s_or_b32 exec_lo, exec_lo, s5
	s_mov_b32 s5, exec_lo
                                        ; implicit-def: $sgpr4
	v_cmpx_ne_u32_e64 v13, v15
	s_xor_b32 s5, exec_lo, s5
	s_cbranch_execnz .LBB2_348
; %bb.276:                              ;   in Loop: Header=BB2_214 Depth=2
	s_andn2_saveexec_b32 s5, s5
	s_cbranch_execnz .LBB2_349
.LBB2_277:                              ;   in Loop: Header=BB2_214 Depth=2
	s_or_b32 exec_lo, exec_lo, s5
	s_and_saveexec_b32 s5, s4
	s_cbranch_execz .LBB2_279
.LBB2_278:                              ;   in Loop: Header=BB2_214 Depth=2
	v_mov_b32_e32 v0, s58
	s_clause 0x7
	buffer_load_dword v1, off, s[0:3], 0 offset:16
	buffer_load_dword v2, off, s[0:3], 0 offset:20
	;; [unrolled: 1-line block ×3, first 2 shown]
	buffer_load_dword v6, v0, s[0:3], 0 offen
	buffer_load_dword v7, v0, s[0:3], 0 offen offset:4
	buffer_load_dword v9, v0, s[0:3], 0 offen offset:8
	;; [unrolled: 1-line block ×3, first 2 shown]
	buffer_load_dword v10, off, s[0:3], 0 offset:28
	s_waitcnt vmcnt(7)
	buffer_store_dword v1, v0, s[0:3], 0 offen
	s_waitcnt vmcnt(6)
	buffer_store_dword v2, v0, s[0:3], 0 offen offset:4
	s_waitcnt vmcnt(5)
	buffer_store_dword v5, v0, s[0:3], 0 offen offset:8
	s_waitcnt vmcnt(4)
	buffer_store_dword v6, off, s[0:3], 0 offset:16
	s_waitcnt vmcnt(3)
	buffer_store_dword v7, off, s[0:3], 0 offset:20
	;; [unrolled: 2-line block ×4, first 2 shown]
	s_waitcnt vmcnt(0)
	buffer_store_dword v10, v0, s[0:3], 0 offen offset:12
.LBB2_279:                              ;   in Loop: Header=BB2_214 Depth=2
	s_or_b32 exec_lo, exec_lo, s5
	s_mov_b32 s5, exec_lo
                                        ; implicit-def: $sgpr4
	v_cmpx_ne_u32_e64 v13, v14
	s_xor_b32 s5, exec_lo, s5
	s_cbranch_execnz .LBB2_354
; %bb.280:                              ;   in Loop: Header=BB2_214 Depth=2
	s_andn2_saveexec_b32 s5, s5
	s_cbranch_execnz .LBB2_355
.LBB2_281:                              ;   in Loop: Header=BB2_214 Depth=2
	s_or_b32 exec_lo, exec_lo, s5
	s_and_saveexec_b32 s5, s4
	s_cbranch_execz .LBB2_283
.LBB2_282:                              ;   in Loop: Header=BB2_214 Depth=2
	v_mov_b32_e32 v0, s59
	s_clause 0x7
	buffer_load_dword v1, off, s[0:3], 0 offset:16
	buffer_load_dword v2, off, s[0:3], 0 offset:20
	buffer_load_dword v3, off, s[0:3], 0 offset:24
	buffer_load_dword v5, v0, s[0:3], 0 offen
	buffer_load_dword v6, v0, s[0:3], 0 offen offset:4
	buffer_load_dword v7, v0, s[0:3], 0 offen offset:8
	;; [unrolled: 1-line block ×3, first 2 shown]
	buffer_load_dword v8, off, s[0:3], 0 offset:28
	s_waitcnt vmcnt(7)
	buffer_store_dword v1, v0, s[0:3], 0 offen
	s_waitcnt vmcnt(6)
	buffer_store_dword v2, v0, s[0:3], 0 offen offset:4
	s_waitcnt vmcnt(5)
	buffer_store_dword v3, v0, s[0:3], 0 offen offset:8
	s_waitcnt vmcnt(4)
	buffer_store_dword v5, off, s[0:3], 0 offset:16
	s_waitcnt vmcnt(3)
	buffer_store_dword v6, off, s[0:3], 0 offset:20
	;; [unrolled: 2-line block ×4, first 2 shown]
	s_waitcnt vmcnt(0)
	buffer_store_dword v8, v0, s[0:3], 0 offen offset:12
.LBB2_283:                              ;   in Loop: Header=BB2_214 Depth=2
	s_or_b32 exec_lo, exec_lo, s5
	buffer_load_dword v0, off, s[0:3], 0 offset:44
	s_mov_b32 s5, exec_lo
                                        ; implicit-def: $sgpr4
	s_waitcnt vmcnt(0)
	v_cmpx_ne_u32_e64 v0, v13
	s_xor_b32 s5, exec_lo, s5
	s_cbranch_execnz .LBB2_360
; %bb.284:                              ;   in Loop: Header=BB2_214 Depth=2
	s_andn2_saveexec_b32 s5, s5
	s_cbranch_execnz .LBB2_361
.LBB2_285:                              ;   in Loop: Header=BB2_214 Depth=2
	s_or_b32 exec_lo, exec_lo, s5
	s_and_saveexec_b32 s5, s4
	s_cbranch_execz .LBB2_287
.LBB2_286:                              ;   in Loop: Header=BB2_214 Depth=2
	buffer_load_dword v0, off, s[0:3], 0 offset:28
	v_mov_b32_e32 v1, s51
	s_clause 0x6
	buffer_load_dword v2, off, s[0:3], 0 offset:16
	buffer_load_dword v3, off, s[0:3], 0 offset:20
	buffer_load_dword v5, v1, s[0:3], 0 offen
	buffer_load_dword v6, off, s[0:3], 0 offset:24
	buffer_load_dword v7, v1, s[0:3], 0 offen offset:8
	buffer_load_dword v8, v1, s[0:3], 0 offen offset:4
	;; [unrolled: 1-line block ×3, first 2 shown]
	s_waitcnt vmcnt(7)
	buffer_store_dword v0, v1, s[0:3], 0 offen offset:12
	buffer_load_dword v0, off, s[0:3], 0 offset:44
	s_waitcnt vmcnt(7)
	buffer_store_dword v2, v1, s[0:3], 0 offen
	s_waitcnt vmcnt(6)
	buffer_store_dword v3, v1, s[0:3], 0 offen offset:4
	s_waitcnt vmcnt(4)
	buffer_store_dword v6, v1, s[0:3], 0 offen offset:8
	buffer_store_dword v5, off, s[0:3], 0 offset:16
	s_waitcnt vmcnt(2)
	buffer_store_dword v8, off, s[0:3], 0 offset:20
	buffer_store_dword v7, off, s[0:3], 0 offset:24
	s_waitcnt vmcnt(1)
	buffer_store_dword v9, off, s[0:3], 0 offset:28
.LBB2_287:                              ;   in Loop: Header=BB2_214 Depth=2
	s_or_b32 exec_lo, exec_lo, s5
	buffer_load_dword v1, off, s[0:3], 0 offset:60
	s_mov_b32 s5, exec_lo
                                        ; implicit-def: $sgpr4
	s_waitcnt vmcnt(0)
	v_cmpx_ne_u32_e64 v0, v1
	s_xor_b32 s5, exec_lo, s5
	s_cbranch_execnz .LBB2_366
; %bb.288:                              ;   in Loop: Header=BB2_214 Depth=2
	s_andn2_saveexec_b32 s5, s5
	s_cbranch_execnz .LBB2_367
.LBB2_289:                              ;   in Loop: Header=BB2_214 Depth=2
	s_or_b32 exec_lo, exec_lo, s5
	s_and_saveexec_b32 s5, s4
	s_cbranch_execz .LBB2_291
.LBB2_290:                              ;   in Loop: Header=BB2_214 Depth=2
	v_mov_b32_e32 v1, s58
	v_mov_b32_e32 v2, s51
	s_clause 0x7
	buffer_load_dword v0, v1, s[0:3], 0 offen offset:12
	buffer_load_dword v3, v2, s[0:3], 0 offen
	buffer_load_dword v5, v1, s[0:3], 0 offen
	buffer_load_dword v6, v1, s[0:3], 0 offen offset:4
	buffer_load_dword v7, v1, s[0:3], 0 offen offset:8
	;; [unrolled: 1-line block ×5, first 2 shown]
	s_waitcnt vmcnt(7)
	buffer_store_dword v0, v2, s[0:3], 0 offen offset:12
	buffer_load_dword v0, off, s[0:3], 0 offset:44
	s_waitcnt vmcnt(6)
	buffer_store_dword v5, v2, s[0:3], 0 offen
	s_waitcnt vmcnt(5)
	buffer_store_dword v6, v2, s[0:3], 0 offen offset:4
	s_waitcnt vmcnt(4)
	buffer_store_dword v7, v2, s[0:3], 0 offen offset:8
	buffer_store_dword v3, v1, s[0:3], 0 offen
	s_waitcnt vmcnt(3)
	buffer_store_dword v8, v1, s[0:3], 0 offen offset:4
	s_waitcnt vmcnt(2)
	buffer_store_dword v9, v1, s[0:3], 0 offen offset:8
	;; [unrolled: 2-line block ×3, first 2 shown]
.LBB2_291:                              ;   in Loop: Header=BB2_214 Depth=2
	s_or_b32 exec_lo, exec_lo, s5
	buffer_load_dword v1, off, s[0:3], 0 offset:76
	s_mov_b32 s5, exec_lo
                                        ; implicit-def: $sgpr4
	s_waitcnt vmcnt(0)
	v_cmpx_ne_u32_e64 v0, v1
	s_xor_b32 s5, exec_lo, s5
	s_cbranch_execnz .LBB2_372
; %bb.292:                              ;   in Loop: Header=BB2_214 Depth=2
	s_andn2_saveexec_b32 s5, s5
	s_cbranch_execnz .LBB2_373
.LBB2_293:                              ;   in Loop: Header=BB2_214 Depth=2
	s_or_b32 exec_lo, exec_lo, s5
	s_and_saveexec_b32 s5, s4
	s_cbranch_execz .LBB2_295
.LBB2_294:                              ;   in Loop: Header=BB2_214 Depth=2
	v_mov_b32_e32 v0, s59
	v_mov_b32_e32 v1, s51
	s_clause 0x7
	buffer_load_dword v2, v0, s[0:3], 0 offen
	buffer_load_dword v3, v0, s[0:3], 0 offen offset:4
	buffer_load_dword v5, v0, s[0:3], 0 offen offset:8
	;; [unrolled: 1-line block ×3, first 2 shown]
	buffer_load_dword v7, v1, s[0:3], 0 offen
	buffer_load_dword v8, v1, s[0:3], 0 offen offset:4
	buffer_load_dword v9, v1, s[0:3], 0 offen offset:8
	;; [unrolled: 1-line block ×3, first 2 shown]
	s_waitcnt vmcnt(7)
	buffer_store_dword v2, v1, s[0:3], 0 offen
	s_waitcnt vmcnt(6)
	buffer_store_dword v3, v1, s[0:3], 0 offen offset:4
	s_waitcnt vmcnt(5)
	buffer_store_dword v5, v1, s[0:3], 0 offen offset:8
	;; [unrolled: 2-line block ×3, first 2 shown]
	s_waitcnt vmcnt(3)
	buffer_store_dword v7, v0, s[0:3], 0 offen
	s_waitcnt vmcnt(2)
	buffer_store_dword v8, v0, s[0:3], 0 offen offset:4
	s_waitcnt vmcnt(1)
	buffer_store_dword v9, v0, s[0:3], 0 offen offset:8
	;; [unrolled: 2-line block ×3, first 2 shown]
.LBB2_295:                              ;   in Loop: Header=BB2_214 Depth=2
	s_or_b32 exec_lo, exec_lo, s5
	s_clause 0x1
	buffer_load_dword v0, off, s[0:3], 0 offset:28
	buffer_load_dword v1, off, s[0:3], 0 offset:60
	s_mov_b32 s5, exec_lo
                                        ; implicit-def: $sgpr4
	s_waitcnt vmcnt(0)
	v_cmpx_ne_u32_e64 v1, v0
	s_xor_b32 s5, exec_lo, s5
	s_cbranch_execnz .LBB2_378
; %bb.296:                              ;   in Loop: Header=BB2_214 Depth=2
	s_andn2_saveexec_b32 s5, s5
	s_cbranch_execnz .LBB2_379
.LBB2_297:                              ;   in Loop: Header=BB2_214 Depth=2
	s_or_b32 exec_lo, exec_lo, s5
	s_and_saveexec_b32 s5, s4
	s_cbranch_execz .LBB2_299
.LBB2_298:                              ;   in Loop: Header=BB2_214 Depth=2
	buffer_load_dword v0, off, s[0:3], 0 offset:28
	v_mov_b32_e32 v2, s58
	s_clause 0x6
	buffer_load_dword v3, off, s[0:3], 0 offset:16
	buffer_load_dword v5, off, s[0:3], 0 offset:20
	buffer_load_dword v6, v2, s[0:3], 0 offen
	buffer_load_dword v7, off, s[0:3], 0 offset:24
	buffer_load_dword v8, v2, s[0:3], 0 offen offset:8
	buffer_load_dword v9, v2, s[0:3], 0 offen offset:4
	;; [unrolled: 1-line block ×3, first 2 shown]
	s_waitcnt vmcnt(7)
	buffer_store_dword v0, v2, s[0:3], 0 offen offset:12
	buffer_load_dword v1, off, s[0:3], 0 offset:60
	s_waitcnt vmcnt(7)
	buffer_store_dword v3, v2, s[0:3], 0 offen
	s_waitcnt vmcnt(6)
	buffer_store_dword v5, v2, s[0:3], 0 offen offset:4
	s_waitcnt vmcnt(4)
	buffer_store_dword v7, v2, s[0:3], 0 offen offset:8
	buffer_store_dword v6, off, s[0:3], 0 offset:16
	s_waitcnt vmcnt(2)
	buffer_store_dword v9, off, s[0:3], 0 offset:20
	buffer_store_dword v8, off, s[0:3], 0 offset:24
	s_waitcnt vmcnt(1)
	buffer_store_dword v10, off, s[0:3], 0 offset:28
.LBB2_299:                              ;   in Loop: Header=BB2_214 Depth=2
	s_or_b32 exec_lo, exec_lo, s5
	buffer_load_dword v0, off, s[0:3], 0 offset:44
	s_mov_b32 s5, exec_lo
                                        ; implicit-def: $sgpr4
	s_waitcnt vmcnt(0)
	v_cmpx_ne_u32_e64 v1, v0
	s_xor_b32 s5, exec_lo, s5
	s_cbranch_execnz .LBB2_384
; %bb.300:                              ;   in Loop: Header=BB2_214 Depth=2
	s_andn2_saveexec_b32 s5, s5
	s_cbranch_execnz .LBB2_385
.LBB2_301:                              ;   in Loop: Header=BB2_214 Depth=2
	s_or_b32 exec_lo, exec_lo, s5
	s_and_saveexec_b32 s5, s4
	s_cbranch_execz .LBB2_303
.LBB2_302:                              ;   in Loop: Header=BB2_214 Depth=2
	v_mov_b32_e32 v0, s51
	v_mov_b32_e32 v2, s58
	s_clause 0x7
	buffer_load_dword v1, v0, s[0:3], 0 offen offset:12
	buffer_load_dword v3, v2, s[0:3], 0 offen
	buffer_load_dword v5, v0, s[0:3], 0 offen
	buffer_load_dword v6, v0, s[0:3], 0 offen offset:4
	buffer_load_dword v7, v0, s[0:3], 0 offen offset:8
	;; [unrolled: 1-line block ×5, first 2 shown]
	s_waitcnt vmcnt(7)
	buffer_store_dword v1, v2, s[0:3], 0 offen offset:12
	buffer_load_dword v1, off, s[0:3], 0 offset:60
	s_waitcnt vmcnt(6)
	buffer_store_dword v5, v2, s[0:3], 0 offen
	s_waitcnt vmcnt(5)
	buffer_store_dword v6, v2, s[0:3], 0 offen offset:4
	s_waitcnt vmcnt(4)
	buffer_store_dword v7, v2, s[0:3], 0 offen offset:8
	buffer_store_dword v3, v0, s[0:3], 0 offen
	s_waitcnt vmcnt(3)
	buffer_store_dword v8, v0, s[0:3], 0 offen offset:4
	s_waitcnt vmcnt(2)
	buffer_store_dword v9, v0, s[0:3], 0 offen offset:8
	;; [unrolled: 2-line block ×3, first 2 shown]
.LBB2_303:                              ;   in Loop: Header=BB2_214 Depth=2
	s_or_b32 exec_lo, exec_lo, s5
	buffer_load_dword v0, off, s[0:3], 0 offset:76
	s_mov_b32 s5, exec_lo
                                        ; implicit-def: $sgpr4
	s_waitcnt vmcnt(0)
	v_cmpx_ne_u32_e64 v1, v0
	s_xor_b32 s5, exec_lo, s5
	s_cbranch_execnz .LBB2_390
; %bb.304:                              ;   in Loop: Header=BB2_214 Depth=2
	s_andn2_saveexec_b32 s5, s5
	s_cbranch_execnz .LBB2_391
.LBB2_305:                              ;   in Loop: Header=BB2_214 Depth=2
	s_or_b32 exec_lo, exec_lo, s5
	s_and_saveexec_b32 s5, s4
	s_cbranch_execz .LBB2_307
.LBB2_306:                              ;   in Loop: Header=BB2_214 Depth=2
	v_mov_b32_e32 v1, s58
	v_mov_b32_e32 v2, s59
	s_clause 0x7
	buffer_load_dword v0, v1, s[0:3], 0 offen offset:12
	buffer_load_dword v3, v2, s[0:3], 0 offen offset:12
	buffer_load_dword v5, v2, s[0:3], 0 offen
	buffer_load_dword v6, v2, s[0:3], 0 offen offset:4
	buffer_load_dword v7, v2, s[0:3], 0 offen offset:8
	buffer_load_dword v8, v1, s[0:3], 0 offen
	buffer_load_dword v9, v1, s[0:3], 0 offen offset:4
	buffer_load_dword v10, v1, s[0:3], 0 offen offset:8
	s_waitcnt vmcnt(7)
	buffer_store_dword v0, v2, s[0:3], 0 offen offset:12
	buffer_load_dword v0, off, s[0:3], 0 offset:76
	s_waitcnt vmcnt(6)
	buffer_store_dword v5, v1, s[0:3], 0 offen
	s_waitcnt vmcnt(5)
	buffer_store_dword v6, v1, s[0:3], 0 offen offset:4
	s_waitcnt vmcnt(4)
	buffer_store_dword v7, v1, s[0:3], 0 offen offset:8
	buffer_store_dword v3, v1, s[0:3], 0 offen offset:12
	s_waitcnt vmcnt(3)
	buffer_store_dword v8, v2, s[0:3], 0 offen
	s_waitcnt vmcnt(2)
	buffer_store_dword v9, v2, s[0:3], 0 offen offset:4
	s_waitcnt vmcnt(1)
	buffer_store_dword v10, v2, s[0:3], 0 offen offset:8
.LBB2_307:                              ;   in Loop: Header=BB2_214 Depth=2
	s_or_b32 exec_lo, exec_lo, s5
	buffer_load_dword v1, off, s[0:3], 0 offset:28
	s_mov_b32 s5, exec_lo
                                        ; implicit-def: $sgpr4
	s_waitcnt vmcnt(0)
	v_cmpx_ne_u32_e64 v0, v1
	s_xor_b32 s5, exec_lo, s5
	s_cbranch_execnz .LBB2_396
; %bb.308:                              ;   in Loop: Header=BB2_214 Depth=2
	s_andn2_saveexec_b32 s5, s5
	s_cbranch_execnz .LBB2_397
.LBB2_309:                              ;   in Loop: Header=BB2_214 Depth=2
	s_or_b32 exec_lo, exec_lo, s5
	s_and_saveexec_b32 s5, s4
	s_cbranch_execz .LBB2_311
.LBB2_310:                              ;   in Loop: Header=BB2_214 Depth=2
	buffer_load_dword v0, off, s[0:3], 0 offset:28
	v_mov_b32_e32 v1, s59
	s_clause 0x6
	buffer_load_dword v2, off, s[0:3], 0 offset:16
	buffer_load_dword v3, off, s[0:3], 0 offset:20
	buffer_load_dword v5, v1, s[0:3], 0 offen
	buffer_load_dword v6, off, s[0:3], 0 offset:24
	buffer_load_dword v7, v1, s[0:3], 0 offen offset:8
	buffer_load_dword v8, v1, s[0:3], 0 offen offset:4
	;; [unrolled: 1-line block ×3, first 2 shown]
	s_waitcnt vmcnt(7)
	buffer_store_dword v0, v1, s[0:3], 0 offen offset:12
	buffer_load_dword v0, off, s[0:3], 0 offset:76
	s_waitcnt vmcnt(7)
	buffer_store_dword v2, v1, s[0:3], 0 offen
	s_waitcnt vmcnt(6)
	buffer_store_dword v3, v1, s[0:3], 0 offen offset:4
	s_waitcnt vmcnt(4)
	buffer_store_dword v6, v1, s[0:3], 0 offen offset:8
	buffer_store_dword v5, off, s[0:3], 0 offset:16
	s_waitcnt vmcnt(2)
	buffer_store_dword v8, off, s[0:3], 0 offset:20
	buffer_store_dword v7, off, s[0:3], 0 offset:24
	s_waitcnt vmcnt(1)
	buffer_store_dword v9, off, s[0:3], 0 offset:28
.LBB2_311:                              ;   in Loop: Header=BB2_214 Depth=2
	s_or_b32 exec_lo, exec_lo, s5
	buffer_load_dword v1, off, s[0:3], 0 offset:44
	s_mov_b32 s5, exec_lo
                                        ; implicit-def: $sgpr4
	s_waitcnt vmcnt(0)
	v_cmpx_ne_u32_e64 v0, v1
	s_xor_b32 s5, exec_lo, s5
	s_cbranch_execnz .LBB2_402
; %bb.312:                              ;   in Loop: Header=BB2_214 Depth=2
	s_andn2_saveexec_b32 s5, s5
	s_cbranch_execnz .LBB2_403
.LBB2_313:                              ;   in Loop: Header=BB2_214 Depth=2
	s_or_b32 exec_lo, exec_lo, s5
	s_and_saveexec_b32 s5, s4
	s_cbranch_execz .LBB2_315
.LBB2_314:                              ;   in Loop: Header=BB2_214 Depth=2
	v_mov_b32_e32 v1, s51
	v_mov_b32_e32 v2, s59
	s_clause 0x7
	buffer_load_dword v0, v1, s[0:3], 0 offen offset:12
	buffer_load_dword v3, v2, s[0:3], 0 offen
	buffer_load_dword v5, v1, s[0:3], 0 offen
	buffer_load_dword v6, v1, s[0:3], 0 offen offset:4
	buffer_load_dword v7, v1, s[0:3], 0 offen offset:8
	;; [unrolled: 1-line block ×5, first 2 shown]
	s_waitcnt vmcnt(7)
	buffer_store_dword v0, v2, s[0:3], 0 offen offset:12
	buffer_load_dword v0, off, s[0:3], 0 offset:76
	s_waitcnt vmcnt(6)
	buffer_store_dword v5, v2, s[0:3], 0 offen
	s_waitcnt vmcnt(5)
	buffer_store_dword v6, v2, s[0:3], 0 offen offset:4
	s_waitcnt vmcnt(4)
	buffer_store_dword v7, v2, s[0:3], 0 offen offset:8
	buffer_store_dword v3, v1, s[0:3], 0 offen
	s_waitcnt vmcnt(3)
	buffer_store_dword v8, v1, s[0:3], 0 offen offset:4
	s_waitcnt vmcnt(2)
	buffer_store_dword v9, v1, s[0:3], 0 offen offset:8
	;; [unrolled: 2-line block ×3, first 2 shown]
.LBB2_315:                              ;   in Loop: Header=BB2_214 Depth=2
	s_or_b32 exec_lo, exec_lo, s5
	buffer_load_dword v1, off, s[0:3], 0 offset:60
	s_mov_b32 s5, exec_lo
                                        ; implicit-def: $sgpr4
	s_waitcnt vmcnt(0)
	v_cmpx_ne_u32_e64 v0, v1
	s_xor_b32 s5, exec_lo, s5
	s_cbranch_execnz .LBB2_408
; %bb.316:                              ;   in Loop: Header=BB2_214 Depth=2
	s_andn2_saveexec_b32 s5, s5
	s_cbranch_execnz .LBB2_409
.LBB2_317:                              ;   in Loop: Header=BB2_214 Depth=2
	s_or_b32 exec_lo, exec_lo, s5
	s_and_saveexec_b32 s5, s4
	s_cbranch_execz .LBB2_319
.LBB2_318:                              ;   in Loop: Header=BB2_214 Depth=2
	v_mov_b32_e32 v0, s58
	v_mov_b32_e32 v1, s59
	s_clause 0x7
	buffer_load_dword v2, v0, s[0:3], 0 offen
	buffer_load_dword v3, v0, s[0:3], 0 offen offset:4
	buffer_load_dword v5, v0, s[0:3], 0 offen offset:8
	buffer_load_dword v6, v0, s[0:3], 0 offen offset:12
	buffer_load_dword v7, v1, s[0:3], 0 offen
	buffer_load_dword v8, v1, s[0:3], 0 offen offset:4
	buffer_load_dword v9, v1, s[0:3], 0 offen offset:8
	;; [unrolled: 1-line block ×3, first 2 shown]
	s_waitcnt vmcnt(7)
	buffer_store_dword v2, v1, s[0:3], 0 offen
	s_waitcnt vmcnt(6)
	buffer_store_dword v3, v1, s[0:3], 0 offen offset:4
	s_waitcnt vmcnt(5)
	buffer_store_dword v5, v1, s[0:3], 0 offen offset:8
	;; [unrolled: 2-line block ×3, first 2 shown]
	s_waitcnt vmcnt(3)
	buffer_store_dword v7, v0, s[0:3], 0 offen
	s_waitcnt vmcnt(2)
	buffer_store_dword v8, v0, s[0:3], 0 offen offset:4
	s_waitcnt vmcnt(1)
	buffer_store_dword v9, v0, s[0:3], 0 offen offset:8
	;; [unrolled: 2-line block ×3, first 2 shown]
.LBB2_319:                              ;   in Loop: Header=BB2_214 Depth=2
	s_or_b32 exec_lo, exec_lo, s5
	s_clause 0x1
	buffer_load_dword v29, off, s[0:3], 0 offset:28
	buffer_load_dword v28, off, s[0:3], 0 offset:44
	s_mov_b32 s21, exec_lo
	s_waitcnt vmcnt(0)
	v_cmpx_lt_i32_e64 v29, v28
	s_cbranch_execz .LBB2_524
; %bb.320:                              ;   in Loop: Header=BB2_214 Depth=2
	s_load_dwordx2 s[6:7], s[52:53], 0x50
	v_readfirstlane_b32 s4, v83
	v_mov_b32_e32 v5, 0
	v_mov_b32_e32 v6, 0
	v_cmp_eq_u32_e64 s4, s4, v83
	s_and_saveexec_b32 s5, s4
	s_cbranch_execz .LBB2_326
; %bb.321:                              ;   in Loop: Header=BB2_214 Depth=2
	s_waitcnt lgkmcnt(0)
	global_load_dwordx2 v[2:3], v44, s[6:7] offset:24 glc dlc
	s_waitcnt vmcnt(0)
	buffer_gl1_inv
	buffer_gl0_inv
	s_clause 0x1
	global_load_dwordx2 v[0:1], v44, s[6:7] offset:40
	global_load_dwordx2 v[5:6], v44, s[6:7]
	s_mov_b32 s8, exec_lo
	s_waitcnt vmcnt(1)
	v_and_b32_e32 v1, v1, v3
	v_and_b32_e32 v0, v0, v2
	v_mul_lo_u32 v1, v1, 24
	v_mul_hi_u32 v7, v0, 24
	v_mul_lo_u32 v0, v0, 24
	v_add_nc_u32_e32 v1, v7, v1
	s_waitcnt vmcnt(0)
	v_add_co_u32 v0, vcc_lo, v5, v0
	v_add_co_ci_u32_e64 v1, null, v6, v1, vcc_lo
	global_load_dwordx2 v[0:1], v[0:1], off glc dlc
	s_waitcnt vmcnt(0)
	global_atomic_cmpswap_x2 v[5:6], v44, v[0:3], s[6:7] offset:24 glc
	s_waitcnt vmcnt(0)
	buffer_gl1_inv
	buffer_gl0_inv
	v_cmpx_ne_u64_e64 v[5:6], v[2:3]
	s_cbranch_execz .LBB2_325
; %bb.322:                              ;   in Loop: Header=BB2_214 Depth=2
	s_mov_b32 s9, 0
	.p2align	6
.LBB2_323:                              ;   Parent Loop BB2_13 Depth=1
                                        ;     Parent Loop BB2_214 Depth=2
                                        ; =>    This Inner Loop Header: Depth=3
	s_sleep 1
	s_clause 0x1
	global_load_dwordx2 v[0:1], v44, s[6:7] offset:40
	global_load_dwordx2 v[7:8], v44, s[6:7]
	v_mov_b32_e32 v2, v5
	v_mov_b32_e32 v3, v6
	s_waitcnt vmcnt(1)
	v_and_b32_e32 v0, v0, v2
	v_and_b32_e32 v1, v1, v3
	s_waitcnt vmcnt(0)
	v_mad_u64_u32 v[5:6], null, v0, 24, v[7:8]
	v_mov_b32_e32 v0, v6
	v_mad_u64_u32 v[0:1], null, v1, 24, v[0:1]
	v_mov_b32_e32 v6, v0
	global_load_dwordx2 v[0:1], v[5:6], off glc dlc
	s_waitcnt vmcnt(0)
	global_atomic_cmpswap_x2 v[5:6], v44, v[0:3], s[6:7] offset:24 glc
	s_waitcnt vmcnt(0)
	buffer_gl1_inv
	buffer_gl0_inv
	v_cmp_eq_u64_e32 vcc_lo, v[5:6], v[2:3]
	s_or_b32 s9, vcc_lo, s9
	s_andn2_b32 exec_lo, exec_lo, s9
	s_cbranch_execnz .LBB2_323
; %bb.324:                              ;   in Loop: Header=BB2_214 Depth=2
	s_or_b32 exec_lo, exec_lo, s9
.LBB2_325:                              ;   in Loop: Header=BB2_214 Depth=2
	s_or_b32 exec_lo, exec_lo, s8
.LBB2_326:                              ;   in Loop: Header=BB2_214 Depth=2
	s_or_b32 exec_lo, exec_lo, s5
	s_waitcnt lgkmcnt(0)
	s_clause 0x1
	global_load_dwordx2 v[7:8], v44, s[6:7] offset:40
	global_load_dwordx4 v[0:3], v44, s[6:7]
	v_readfirstlane_b32 s9, v6
	v_readfirstlane_b32 s8, v5
	s_mov_b32 s5, exec_lo
	s_waitcnt vmcnt(1)
	v_readfirstlane_b32 s10, v7
	v_readfirstlane_b32 s11, v8
	s_and_b64 s[10:11], s[10:11], s[8:9]
	s_mul_i32 s12, s11, 24
	s_mul_hi_u32 s13, s10, 24
	s_mul_i32 s14, s10, 24
	s_add_i32 s13, s13, s12
	s_waitcnt vmcnt(0)
	v_add_co_u32 v5, vcc_lo, v0, s14
	v_add_co_ci_u32_e64 v6, null, s13, v1, vcc_lo
	s_and_saveexec_b32 s12, s4
	s_cbranch_execz .LBB2_328
; %bb.327:                              ;   in Loop: Header=BB2_214 Depth=2
	v_mov_b32_e32 v43, s5
	global_store_dwordx4 v[5:6], v[43:46], off offset:8
.LBB2_328:                              ;   in Loop: Header=BB2_214 Depth=2
	s_or_b32 exec_lo, exec_lo, s12
	s_lshl_b64 s[10:11], s[10:11], 12
	s_mov_b32 s41, s40
	v_add_co_u32 v9, vcc_lo, v2, s10
	v_add_co_ci_u32_e64 v10, null, s11, v3, vcc_lo
	s_mov_b32 s42, s40
	s_mov_b32 s43, s40
	v_lshlrev_b32_e32 v30, 6, v83
	v_mov_b32_e32 v52, v44
	v_mov_b32_e32 v53, v44
	;; [unrolled: 1-line block ×3, first 2 shown]
	v_readfirstlane_b32 s10, v9
	v_readfirstlane_b32 s11, v10
	v_mov_b32_e32 v11, s40
	v_mov_b32_e32 v12, s41
	;; [unrolled: 1-line block ×4, first 2 shown]
	global_store_dwordx4 v30, v[51:54], s[10:11]
	global_store_dwordx4 v30, v[11:14], s[10:11] offset:16
	global_store_dwordx4 v30, v[11:14], s[10:11] offset:32
	;; [unrolled: 1-line block ×3, first 2 shown]
	s_and_saveexec_b32 s5, s4
	s_cbranch_execz .LBB2_336
; %bb.329:                              ;   in Loop: Header=BB2_214 Depth=2
	s_clause 0x1
	global_load_dwordx2 v[13:14], v44, s[6:7] offset:32 glc dlc
	global_load_dwordx2 v[2:3], v44, s[6:7] offset:40
	v_mov_b32_e32 v11, s8
	v_mov_b32_e32 v12, s9
	s_mov_b32 s10, exec_lo
	s_waitcnt vmcnt(0)
	v_and_b32_e32 v3, s9, v3
	v_and_b32_e32 v2, s8, v2
	v_mul_lo_u32 v3, v3, 24
	v_mul_hi_u32 v7, v2, 24
	v_mul_lo_u32 v2, v2, 24
	v_add_nc_u32_e32 v3, v7, v3
	v_add_co_u32 v7, vcc_lo, v0, v2
	v_add_co_ci_u32_e64 v8, null, v1, v3, vcc_lo
	global_store_dwordx2 v[7:8], v[13:14], off
	s_waitcnt_vscnt null, 0x0
	global_atomic_cmpswap_x2 v[2:3], v44, v[11:14], s[6:7] offset:32 glc
	s_waitcnt vmcnt(0)
	v_cmpx_ne_u64_e64 v[2:3], v[13:14]
	s_cbranch_execz .LBB2_332
; %bb.330:                              ;   in Loop: Header=BB2_214 Depth=2
	s_mov_b32 s11, 0
.LBB2_331:                              ;   Parent Loop BB2_13 Depth=1
                                        ;     Parent Loop BB2_214 Depth=2
                                        ; =>    This Inner Loop Header: Depth=3
	v_mov_b32_e32 v0, s8
	v_mov_b32_e32 v1, s9
	s_sleep 1
	global_store_dwordx2 v[7:8], v[2:3], off
	s_waitcnt_vscnt null, 0x0
	global_atomic_cmpswap_x2 v[0:1], v44, v[0:3], s[6:7] offset:32 glc
	s_waitcnt vmcnt(0)
	v_cmp_eq_u64_e32 vcc_lo, v[0:1], v[2:3]
	v_mov_b32_e32 v3, v1
	v_mov_b32_e32 v2, v0
	s_or_b32 s11, vcc_lo, s11
	s_andn2_b32 exec_lo, exec_lo, s11
	s_cbranch_execnz .LBB2_331
.LBB2_332:                              ;   in Loop: Header=BB2_214 Depth=2
	s_or_b32 exec_lo, exec_lo, s10
	global_load_dwordx2 v[0:1], v44, s[6:7] offset:16
	s_mov_b32 s11, exec_lo
	s_mov_b32 s10, exec_lo
	v_mbcnt_lo_u32_b32 v2, s11, 0
	v_cmpx_eq_u32_e32 0, v2
	s_cbranch_execz .LBB2_334
; %bb.333:                              ;   in Loop: Header=BB2_214 Depth=2
	s_bcnt1_i32_b32 s11, s11
	v_mov_b32_e32 v43, s11
	s_waitcnt vmcnt(0)
	global_atomic_add_x2 v[0:1], v[43:44], off offset:8
.LBB2_334:                              ;   in Loop: Header=BB2_214 Depth=2
	s_or_b32 exec_lo, exec_lo, s10
	s_waitcnt vmcnt(0)
	global_load_dwordx2 v[2:3], v[0:1], off offset:16
	s_waitcnt vmcnt(0)
	v_cmp_eq_u64_e32 vcc_lo, 0, v[2:3]
	s_cbranch_vccnz .LBB2_336
; %bb.335:                              ;   in Loop: Header=BB2_214 Depth=2
	global_load_dword v43, v[0:1], off offset:24
	s_waitcnt vmcnt(0)
	v_readfirstlane_b32 s10, v43
	s_waitcnt_vscnt null, 0x0
	global_store_dwordx2 v[2:3], v[43:44], off
	s_and_b32 m0, s10, 0x7fffff
	s_sendmsg sendmsg(MSG_INTERRUPT)
.LBB2_336:                              ;   in Loop: Header=BB2_214 Depth=2
	s_or_b32 exec_lo, exec_lo, s5
	v_add_co_u32 v0, vcc_lo, v9, v30
	v_add_co_ci_u32_e64 v1, null, 0, v10, vcc_lo
	s_branch .LBB2_340
	.p2align	6
.LBB2_337:                              ;   in Loop: Header=BB2_340 Depth=3
	s_or_b32 exec_lo, exec_lo, s5
	v_readfirstlane_b32 s5, v2
	s_cmp_eq_u32 s5, 0
	s_cbranch_scc1 .LBB2_339
; %bb.338:                              ;   in Loop: Header=BB2_340 Depth=3
	s_sleep 1
	s_cbranch_execnz .LBB2_340
	s_branch .LBB2_414
	.p2align	6
.LBB2_339:                              ;   in Loop: Header=BB2_214 Depth=2
	s_branch .LBB2_414
.LBB2_340:                              ;   Parent Loop BB2_13 Depth=1
                                        ;     Parent Loop BB2_214 Depth=2
                                        ; =>    This Inner Loop Header: Depth=3
	v_mov_b32_e32 v2, 1
	s_and_saveexec_b32 s5, s4
	s_cbranch_execz .LBB2_337
; %bb.341:                              ;   in Loop: Header=BB2_340 Depth=3
	global_load_dword v2, v[5:6], off offset:20 glc dlc
	s_waitcnt vmcnt(0)
	buffer_gl1_inv
	buffer_gl0_inv
	v_and_b32_e32 v2, 1, v2
	s_branch .LBB2_337
.LBB2_342:                              ;   in Loop: Header=BB2_214 Depth=2
	v_cmp_gt_u32_e64 s4, v13, v16
	s_andn2_saveexec_b32 s5, s5
	s_cbranch_execz .LBB2_273
.LBB2_343:                              ;   in Loop: Header=BB2_214 Depth=2
	s_mov_b32 s7, exec_lo
                                        ; implicit-def: $sgpr6
	v_cmpx_ne_u32_e64 v5, v6
	s_xor_b32 s7, exec_lo, s7
; %bb.344:                              ;   in Loop: Header=BB2_214 Depth=2
	v_cmp_gt_u32_e64 s6, v5, v6
; %bb.345:                              ;   in Loop: Header=BB2_214 Depth=2
	s_andn2_saveexec_b32 s7, s7
; %bb.346:                              ;   in Loop: Header=BB2_214 Depth=2
	v_cmp_ge_u32_e32 vcc_lo, v0, v1
	s_andn2_b32 s6, s6, exec_lo
	s_and_b32 s8, vcc_lo, exec_lo
	s_or_b32 s6, s6, s8
; %bb.347:                              ;   in Loop: Header=BB2_214 Depth=2
	s_or_b32 exec_lo, exec_lo, s7
	s_andn2_b32 s4, s4, exec_lo
	s_and_b32 s6, s6, exec_lo
	s_or_b32 s4, s4, s6
	s_or_b32 exec_lo, exec_lo, s5
	s_and_saveexec_b32 s5, s4
	s_cbranch_execnz .LBB2_274
	s_branch .LBB2_275
.LBB2_348:                              ;   in Loop: Header=BB2_214 Depth=2
	v_cmp_gt_u32_e64 s4, v13, v15
	s_andn2_saveexec_b32 s5, s5
	s_cbranch_execz .LBB2_277
.LBB2_349:                              ;   in Loop: Header=BB2_214 Depth=2
	buffer_load_dword v0, off, s[0:3], 0 offset:20
	s_mov_b32 s7, exec_lo
                                        ; implicit-def: $sgpr6
	s_waitcnt vmcnt(0)
	v_cmpx_ne_u32_e64 v0, v7
	s_xor_b32 s7, exec_lo, s7
; %bb.350:                              ;   in Loop: Header=BB2_214 Depth=2
	v_cmp_gt_u32_e64 s6, v0, v7
; %bb.351:                              ;   in Loop: Header=BB2_214 Depth=2
	s_andn2_saveexec_b32 s7, s7
	s_cbranch_execz .LBB2_353
; %bb.352:                              ;   in Loop: Header=BB2_214 Depth=2
	buffer_load_dword v0, off, s[0:3], 0 offset:24
	s_andn2_b32 s6, s6, exec_lo
	s_waitcnt vmcnt(0)
	v_cmp_ge_u32_e32 vcc_lo, v0, v2
	s_and_b32 s8, vcc_lo, exec_lo
	s_or_b32 s6, s6, s8
.LBB2_353:                              ;   in Loop: Header=BB2_214 Depth=2
	s_or_b32 exec_lo, exec_lo, s7
	s_andn2_b32 s4, s4, exec_lo
	s_and_b32 s6, s6, exec_lo
	s_or_b32 s4, s4, s6
	s_or_b32 exec_lo, exec_lo, s5
	s_and_saveexec_b32 s5, s4
	s_cbranch_execnz .LBB2_278
	s_branch .LBB2_279
.LBB2_354:                              ;   in Loop: Header=BB2_214 Depth=2
	v_cmp_gt_u32_e64 s4, v13, v14
                                        ; implicit-def: $vgpr0_vgpr1_vgpr2_vgpr3
                                        ; implicit-def: $vgpr5_vgpr6_vgpr7_vgpr8
	s_andn2_saveexec_b32 s5, s5
	s_cbranch_execz .LBB2_281
.LBB2_355:                              ;   in Loop: Header=BB2_214 Depth=2
	buffer_load_dword v0, off, s[0:3], 0 offset:20
	s_mov_b32 s7, exec_lo
                                        ; implicit-def: $sgpr6
	s_waitcnt vmcnt(0)
	v_cmpx_ne_u32_e64 v0, v8
	s_xor_b32 s7, exec_lo, s7
; %bb.356:                              ;   in Loop: Header=BB2_214 Depth=2
	v_cmp_gt_u32_e64 s6, v0, v8
                                        ; implicit-def: $vgpr0_vgpr1_vgpr2_vgpr3
; %bb.357:                              ;   in Loop: Header=BB2_214 Depth=2
	s_andn2_saveexec_b32 s7, s7
	s_cbranch_execz .LBB2_359
; %bb.358:                              ;   in Loop: Header=BB2_214 Depth=2
	buffer_load_dword v0, off, s[0:3], 0 offset:24
	s_andn2_b32 s6, s6, exec_lo
	s_waitcnt vmcnt(0)
	v_cmp_ge_u32_e32 vcc_lo, v0, v3
	s_and_b32 s8, vcc_lo, exec_lo
	s_or_b32 s6, s6, s8
.LBB2_359:                              ;   in Loop: Header=BB2_214 Depth=2
	s_or_b32 exec_lo, exec_lo, s7
	s_andn2_b32 s4, s4, exec_lo
	s_and_b32 s6, s6, exec_lo
	s_or_b32 s4, s4, s6
	s_or_b32 exec_lo, exec_lo, s5
	s_and_saveexec_b32 s5, s4
	s_cbranch_execnz .LBB2_282
	s_branch .LBB2_283
.LBB2_360:                              ;   in Loop: Header=BB2_214 Depth=2
	v_cmp_gt_u32_e64 s4, v0, v13
	s_andn2_saveexec_b32 s5, s5
	s_cbranch_execz .LBB2_285
.LBB2_361:                              ;   in Loop: Header=BB2_214 Depth=2
	s_clause 0x1
	buffer_load_dword v1, off, s[0:3], 0 offset:20
	buffer_load_dword v2, off, s[0:3], 0 offset:36
	s_mov_b32 s7, exec_lo
                                        ; implicit-def: $sgpr6
	s_waitcnt vmcnt(0)
	v_cmpx_ne_u32_e64 v2, v1
	s_xor_b32 s7, exec_lo, s7
; %bb.362:                              ;   in Loop: Header=BB2_214 Depth=2
	v_cmp_gt_u32_e64 s6, v2, v1
; %bb.363:                              ;   in Loop: Header=BB2_214 Depth=2
	s_andn2_saveexec_b32 s7, s7
	s_cbranch_execz .LBB2_365
; %bb.364:                              ;   in Loop: Header=BB2_214 Depth=2
	s_clause 0x1
	buffer_load_dword v1, off, s[0:3], 0 offset:24
	buffer_load_dword v2, off, s[0:3], 0 offset:40
	s_andn2_b32 s6, s6, exec_lo
	s_waitcnt vmcnt(0)
	v_cmp_ge_u32_e32 vcc_lo, v2, v1
	s_and_b32 s8, vcc_lo, exec_lo
	s_or_b32 s6, s6, s8
.LBB2_365:                              ;   in Loop: Header=BB2_214 Depth=2
	s_or_b32 exec_lo, exec_lo, s7
	s_andn2_b32 s4, s4, exec_lo
	s_and_b32 s6, s6, exec_lo
	s_or_b32 s4, s4, s6
	s_or_b32 exec_lo, exec_lo, s5
	s_and_saveexec_b32 s5, s4
	s_cbranch_execnz .LBB2_286
	s_branch .LBB2_287
.LBB2_366:                              ;   in Loop: Header=BB2_214 Depth=2
	v_cmp_gt_u32_e64 s4, v0, v1
	s_andn2_saveexec_b32 s5, s5
	s_cbranch_execz .LBB2_289
.LBB2_367:                              ;   in Loop: Header=BB2_214 Depth=2
	s_clause 0x1
	buffer_load_dword v1, off, s[0:3], 0 offset:36
	buffer_load_dword v2, off, s[0:3], 0 offset:52
	s_mov_b32 s7, exec_lo
                                        ; implicit-def: $sgpr6
	s_waitcnt vmcnt(0)
	v_cmpx_ne_u32_e64 v1, v2
	s_xor_b32 s7, exec_lo, s7
; %bb.368:                              ;   in Loop: Header=BB2_214 Depth=2
	v_cmp_gt_u32_e64 s6, v1, v2
; %bb.369:                              ;   in Loop: Header=BB2_214 Depth=2
	s_andn2_saveexec_b32 s7, s7
	s_cbranch_execz .LBB2_371
; %bb.370:                              ;   in Loop: Header=BB2_214 Depth=2
	s_clause 0x1
	buffer_load_dword v1, off, s[0:3], 0 offset:40
	buffer_load_dword v2, off, s[0:3], 0 offset:56
	s_andn2_b32 s6, s6, exec_lo
	s_waitcnt vmcnt(0)
	v_cmp_ge_u32_e32 vcc_lo, v1, v2
	s_and_b32 s8, vcc_lo, exec_lo
	s_or_b32 s6, s6, s8
.LBB2_371:                              ;   in Loop: Header=BB2_214 Depth=2
	s_or_b32 exec_lo, exec_lo, s7
	s_andn2_b32 s4, s4, exec_lo
	s_and_b32 s6, s6, exec_lo
	s_or_b32 s4, s4, s6
	s_or_b32 exec_lo, exec_lo, s5
	s_and_saveexec_b32 s5, s4
	s_cbranch_execnz .LBB2_290
	s_branch .LBB2_291
.LBB2_372:                              ;   in Loop: Header=BB2_214 Depth=2
	v_cmp_gt_u32_e64 s4, v0, v1
	s_andn2_saveexec_b32 s5, s5
	s_cbranch_execz .LBB2_293
.LBB2_373:                              ;   in Loop: Header=BB2_214 Depth=2
	s_clause 0x1
	buffer_load_dword v0, off, s[0:3], 0 offset:36
	buffer_load_dword v1, off, s[0:3], 0 offset:68
	s_mov_b32 s7, exec_lo
                                        ; implicit-def: $sgpr6
	s_waitcnt vmcnt(0)
	v_cmpx_ne_u32_e64 v0, v1
	s_xor_b32 s7, exec_lo, s7
; %bb.374:                              ;   in Loop: Header=BB2_214 Depth=2
	v_cmp_gt_u32_e64 s6, v0, v1
; %bb.375:                              ;   in Loop: Header=BB2_214 Depth=2
	s_andn2_saveexec_b32 s7, s7
	s_cbranch_execz .LBB2_377
; %bb.376:                              ;   in Loop: Header=BB2_214 Depth=2
	s_clause 0x1
	buffer_load_dword v0, off, s[0:3], 0 offset:40
	buffer_load_dword v1, off, s[0:3], 0 offset:72
	s_andn2_b32 s6, s6, exec_lo
	s_waitcnt vmcnt(0)
	v_cmp_ge_u32_e32 vcc_lo, v0, v1
	s_and_b32 s8, vcc_lo, exec_lo
	s_or_b32 s6, s6, s8
.LBB2_377:                              ;   in Loop: Header=BB2_214 Depth=2
	s_or_b32 exec_lo, exec_lo, s7
	s_andn2_b32 s4, s4, exec_lo
	s_and_b32 s6, s6, exec_lo
	s_or_b32 s4, s4, s6
	s_or_b32 exec_lo, exec_lo, s5
	s_and_saveexec_b32 s5, s4
	s_cbranch_execnz .LBB2_294
	s_branch .LBB2_295
.LBB2_378:                              ;   in Loop: Header=BB2_214 Depth=2
	v_cmp_gt_u32_e64 s4, v1, v0
	s_andn2_saveexec_b32 s5, s5
	s_cbranch_execz .LBB2_297
.LBB2_379:                              ;   in Loop: Header=BB2_214 Depth=2
	s_clause 0x1
	buffer_load_dword v0, off, s[0:3], 0 offset:20
	buffer_load_dword v2, off, s[0:3], 0 offset:52
	s_mov_b32 s7, exec_lo
                                        ; implicit-def: $sgpr6
	s_waitcnt vmcnt(0)
	v_cmpx_ne_u32_e64 v2, v0
	s_xor_b32 s7, exec_lo, s7
; %bb.380:                              ;   in Loop: Header=BB2_214 Depth=2
	v_cmp_gt_u32_e64 s6, v2, v0
; %bb.381:                              ;   in Loop: Header=BB2_214 Depth=2
	s_andn2_saveexec_b32 s7, s7
	s_cbranch_execz .LBB2_383
; %bb.382:                              ;   in Loop: Header=BB2_214 Depth=2
	s_clause 0x1
	buffer_load_dword v0, off, s[0:3], 0 offset:24
	buffer_load_dword v2, off, s[0:3], 0 offset:56
	s_andn2_b32 s6, s6, exec_lo
	s_waitcnt vmcnt(0)
	v_cmp_ge_u32_e32 vcc_lo, v2, v0
	s_and_b32 s8, vcc_lo, exec_lo
	s_or_b32 s6, s6, s8
.LBB2_383:                              ;   in Loop: Header=BB2_214 Depth=2
	s_or_b32 exec_lo, exec_lo, s7
	s_andn2_b32 s4, s4, exec_lo
	s_and_b32 s6, s6, exec_lo
	s_or_b32 s4, s4, s6
	s_or_b32 exec_lo, exec_lo, s5
	s_and_saveexec_b32 s5, s4
	s_cbranch_execnz .LBB2_298
	s_branch .LBB2_299
.LBB2_384:                              ;   in Loop: Header=BB2_214 Depth=2
	v_cmp_gt_u32_e64 s4, v1, v0
	s_andn2_saveexec_b32 s5, s5
	s_cbranch_execz .LBB2_301
.LBB2_385:                              ;   in Loop: Header=BB2_214 Depth=2
	s_clause 0x1
	buffer_load_dword v0, off, s[0:3], 0 offset:36
	buffer_load_dword v2, off, s[0:3], 0 offset:52
	s_mov_b32 s7, exec_lo
                                        ; implicit-def: $sgpr6
	s_waitcnt vmcnt(0)
	v_cmpx_ne_u32_e64 v2, v0
	s_xor_b32 s7, exec_lo, s7
; %bb.386:                              ;   in Loop: Header=BB2_214 Depth=2
	v_cmp_gt_u32_e64 s6, v2, v0
; %bb.387:                              ;   in Loop: Header=BB2_214 Depth=2
	s_andn2_saveexec_b32 s7, s7
	s_cbranch_execz .LBB2_389
; %bb.388:                              ;   in Loop: Header=BB2_214 Depth=2
	s_clause 0x1
	buffer_load_dword v0, off, s[0:3], 0 offset:40
	buffer_load_dword v2, off, s[0:3], 0 offset:56
	s_andn2_b32 s6, s6, exec_lo
	s_waitcnt vmcnt(0)
	v_cmp_ge_u32_e32 vcc_lo, v2, v0
	s_and_b32 s8, vcc_lo, exec_lo
	s_or_b32 s6, s6, s8
.LBB2_389:                              ;   in Loop: Header=BB2_214 Depth=2
	s_or_b32 exec_lo, exec_lo, s7
	s_andn2_b32 s4, s4, exec_lo
	s_and_b32 s6, s6, exec_lo
	s_or_b32 s4, s4, s6
	s_or_b32 exec_lo, exec_lo, s5
	s_and_saveexec_b32 s5, s4
	s_cbranch_execnz .LBB2_302
	s_branch .LBB2_303
.LBB2_390:                              ;   in Loop: Header=BB2_214 Depth=2
	v_cmp_gt_u32_e64 s4, v1, v0
	s_andn2_saveexec_b32 s5, s5
	s_cbranch_execz .LBB2_305
.LBB2_391:                              ;   in Loop: Header=BB2_214 Depth=2
	s_clause 0x1
	buffer_load_dword v1, off, s[0:3], 0 offset:52
	buffer_load_dword v2, off, s[0:3], 0 offset:68
	s_mov_b32 s7, exec_lo
                                        ; implicit-def: $sgpr6
	s_waitcnt vmcnt(0)
	v_cmpx_ne_u32_e64 v1, v2
	s_xor_b32 s7, exec_lo, s7
; %bb.392:                              ;   in Loop: Header=BB2_214 Depth=2
	v_cmp_gt_u32_e64 s6, v1, v2
; %bb.393:                              ;   in Loop: Header=BB2_214 Depth=2
	s_andn2_saveexec_b32 s7, s7
	s_cbranch_execz .LBB2_395
; %bb.394:                              ;   in Loop: Header=BB2_214 Depth=2
	s_clause 0x1
	buffer_load_dword v1, off, s[0:3], 0 offset:56
	buffer_load_dword v2, off, s[0:3], 0 offset:72
	s_andn2_b32 s6, s6, exec_lo
	s_waitcnt vmcnt(0)
	v_cmp_ge_u32_e32 vcc_lo, v1, v2
	s_and_b32 s8, vcc_lo, exec_lo
	s_or_b32 s6, s6, s8
.LBB2_395:                              ;   in Loop: Header=BB2_214 Depth=2
	s_or_b32 exec_lo, exec_lo, s7
	s_andn2_b32 s4, s4, exec_lo
	s_and_b32 s6, s6, exec_lo
	s_or_b32 s4, s4, s6
	s_or_b32 exec_lo, exec_lo, s5
	s_and_saveexec_b32 s5, s4
	s_cbranch_execnz .LBB2_306
	s_branch .LBB2_307
.LBB2_396:                              ;   in Loop: Header=BB2_214 Depth=2
	v_cmp_gt_u32_e64 s4, v0, v1
	s_andn2_saveexec_b32 s5, s5
	s_cbranch_execz .LBB2_309
.LBB2_397:                              ;   in Loop: Header=BB2_214 Depth=2
	s_clause 0x1
	buffer_load_dword v1, off, s[0:3], 0 offset:20
	buffer_load_dword v2, off, s[0:3], 0 offset:68
	s_mov_b32 s7, exec_lo
                                        ; implicit-def: $sgpr6
	s_waitcnt vmcnt(0)
	v_cmpx_ne_u32_e64 v2, v1
	s_xor_b32 s7, exec_lo, s7
; %bb.398:                              ;   in Loop: Header=BB2_214 Depth=2
	v_cmp_gt_u32_e64 s6, v2, v1
; %bb.399:                              ;   in Loop: Header=BB2_214 Depth=2
	s_andn2_saveexec_b32 s7, s7
	s_cbranch_execz .LBB2_401
; %bb.400:                              ;   in Loop: Header=BB2_214 Depth=2
	s_clause 0x1
	buffer_load_dword v1, off, s[0:3], 0 offset:24
	buffer_load_dword v2, off, s[0:3], 0 offset:72
	s_andn2_b32 s6, s6, exec_lo
	s_waitcnt vmcnt(0)
	v_cmp_ge_u32_e32 vcc_lo, v2, v1
	s_and_b32 s8, vcc_lo, exec_lo
	s_or_b32 s6, s6, s8
.LBB2_401:                              ;   in Loop: Header=BB2_214 Depth=2
	s_or_b32 exec_lo, exec_lo, s7
	s_andn2_b32 s4, s4, exec_lo
	s_and_b32 s6, s6, exec_lo
	s_or_b32 s4, s4, s6
	s_or_b32 exec_lo, exec_lo, s5
	s_and_saveexec_b32 s5, s4
	s_cbranch_execnz .LBB2_310
	s_branch .LBB2_311
.LBB2_402:                              ;   in Loop: Header=BB2_214 Depth=2
	v_cmp_gt_u32_e64 s4, v0, v1
	s_andn2_saveexec_b32 s5, s5
	s_cbranch_execz .LBB2_313
.LBB2_403:                              ;   in Loop: Header=BB2_214 Depth=2
	s_clause 0x1
	buffer_load_dword v1, off, s[0:3], 0 offset:36
	buffer_load_dword v2, off, s[0:3], 0 offset:68
	s_mov_b32 s7, exec_lo
                                        ; implicit-def: $sgpr6
	s_waitcnt vmcnt(0)
	v_cmpx_ne_u32_e64 v2, v1
	s_xor_b32 s7, exec_lo, s7
; %bb.404:                              ;   in Loop: Header=BB2_214 Depth=2
	v_cmp_gt_u32_e64 s6, v2, v1
; %bb.405:                              ;   in Loop: Header=BB2_214 Depth=2
	s_andn2_saveexec_b32 s7, s7
	s_cbranch_execz .LBB2_407
; %bb.406:                              ;   in Loop: Header=BB2_214 Depth=2
	s_clause 0x1
	buffer_load_dword v1, off, s[0:3], 0 offset:40
	buffer_load_dword v2, off, s[0:3], 0 offset:72
	s_andn2_b32 s6, s6, exec_lo
	s_waitcnt vmcnt(0)
	v_cmp_ge_u32_e32 vcc_lo, v2, v1
	s_and_b32 s8, vcc_lo, exec_lo
	s_or_b32 s6, s6, s8
.LBB2_407:                              ;   in Loop: Header=BB2_214 Depth=2
	s_or_b32 exec_lo, exec_lo, s7
	s_andn2_b32 s4, s4, exec_lo
	s_and_b32 s6, s6, exec_lo
	s_or_b32 s4, s4, s6
	s_or_b32 exec_lo, exec_lo, s5
	s_and_saveexec_b32 s5, s4
	s_cbranch_execnz .LBB2_314
	s_branch .LBB2_315
.LBB2_408:                              ;   in Loop: Header=BB2_214 Depth=2
	v_cmp_gt_u32_e64 s4, v0, v1
	s_andn2_saveexec_b32 s5, s5
	s_cbranch_execz .LBB2_317
.LBB2_409:                              ;   in Loop: Header=BB2_214 Depth=2
	s_clause 0x1
	buffer_load_dword v0, off, s[0:3], 0 offset:52
	buffer_load_dword v1, off, s[0:3], 0 offset:68
	s_mov_b32 s7, exec_lo
                                        ; implicit-def: $sgpr6
	s_waitcnt vmcnt(0)
	v_cmpx_ne_u32_e64 v1, v0
	s_xor_b32 s7, exec_lo, s7
; %bb.410:                              ;   in Loop: Header=BB2_214 Depth=2
	v_cmp_gt_u32_e64 s6, v1, v0
; %bb.411:                              ;   in Loop: Header=BB2_214 Depth=2
	s_andn2_saveexec_b32 s7, s7
	s_cbranch_execz .LBB2_413
; %bb.412:                              ;   in Loop: Header=BB2_214 Depth=2
	s_clause 0x1
	buffer_load_dword v0, off, s[0:3], 0 offset:56
	buffer_load_dword v1, off, s[0:3], 0 offset:72
	s_andn2_b32 s6, s6, exec_lo
	s_waitcnt vmcnt(0)
	v_cmp_ge_u32_e32 vcc_lo, v1, v0
	s_and_b32 s8, vcc_lo, exec_lo
	s_or_b32 s6, s6, s8
.LBB2_413:                              ;   in Loop: Header=BB2_214 Depth=2
	s_or_b32 exec_lo, exec_lo, s7
	s_andn2_b32 s4, s4, exec_lo
	s_and_b32 s6, s6, exec_lo
	s_or_b32 s4, s4, s6
	s_or_b32 exec_lo, exec_lo, s5
	s_and_saveexec_b32 s5, s4
	s_cbranch_execnz .LBB2_318
	s_branch .LBB2_319
.LBB2_414:                              ;   in Loop: Header=BB2_214 Depth=2
	global_load_dwordx2 v[0:1], v[0:1], off
	s_and_saveexec_b32 s10, s4
	s_cbranch_execz .LBB2_418
; %bb.415:                              ;   in Loop: Header=BB2_214 Depth=2
	s_clause 0x2
	global_load_dwordx2 v[2:3], v44, s[6:7] offset:40
	global_load_dwordx2 v[9:10], v44, s[6:7] offset:24 glc dlc
	global_load_dwordx2 v[5:6], v44, s[6:7]
	s_waitcnt vmcnt(2)
	v_readfirstlane_b32 s12, v2
	v_readfirstlane_b32 s13, v3
	s_add_u32 s11, s12, 1
	s_addc_u32 s14, s13, 0
	s_add_u32 s4, s11, s8
	s_addc_u32 s5, s14, s9
	s_cmp_eq_u64 s[4:5], 0
	s_cselect_b32 s5, s14, s5
	s_cselect_b32 s4, s11, s4
	v_mov_b32_e32 v8, s5
	s_and_b64 s[8:9], s[4:5], s[12:13]
	v_mov_b32_e32 v7, s4
	s_mul_i32 s9, s9, 24
	s_mul_hi_u32 s11, s8, 24
	s_mul_i32 s8, s8, 24
	s_add_i32 s11, s11, s9
	s_waitcnt vmcnt(0)
	v_add_co_u32 v2, vcc_lo, v5, s8
	v_add_co_ci_u32_e64 v3, null, s11, v6, vcc_lo
	global_store_dwordx2 v[2:3], v[9:10], off
	s_waitcnt_vscnt null, 0x0
	global_atomic_cmpswap_x2 v[7:8], v44, v[7:10], s[6:7] offset:24 glc
	s_waitcnt vmcnt(0)
	v_cmp_ne_u64_e32 vcc_lo, v[7:8], v[9:10]
	s_and_b32 exec_lo, exec_lo, vcc_lo
	s_cbranch_execz .LBB2_418
; %bb.416:                              ;   in Loop: Header=BB2_214 Depth=2
	s_mov_b32 s8, 0
.LBB2_417:                              ;   Parent Loop BB2_13 Depth=1
                                        ;     Parent Loop BB2_214 Depth=2
                                        ; =>    This Inner Loop Header: Depth=3
	v_mov_b32_e32 v5, s4
	v_mov_b32_e32 v6, s5
	s_sleep 1
	global_store_dwordx2 v[2:3], v[7:8], off
	s_waitcnt_vscnt null, 0x0
	global_atomic_cmpswap_x2 v[5:6], v44, v[5:8], s[6:7] offset:24 glc
	s_waitcnt vmcnt(0)
	v_cmp_eq_u64_e32 vcc_lo, v[5:6], v[7:8]
	v_mov_b32_e32 v8, v6
	v_mov_b32_e32 v7, v5
	s_or_b32 s8, vcc_lo, s8
	s_andn2_b32 exec_lo, exec_lo, s8
	s_cbranch_execnz .LBB2_417
.LBB2_418:                              ;   in Loop: Header=BB2_214 Depth=2
	s_or_b32 exec_lo, exec_lo, s10
	s_and_b32 vcc_lo, exec_lo, s60
	s_cbranch_vccz .LBB2_497
; %bb.419:                              ;   in Loop: Header=BB2_214 Depth=2
	s_waitcnt vmcnt(0)
	v_and_b32_e32 v5, -3, v0
	v_mov_b32_e32 v6, v1
	s_mov_b64 s[10:11], 53
	s_getpc_b64 s[8:9]
	s_add_u32 s8, s8, .str.4@rel32@lo+4
	s_addc_u32 s9, s9, .str.4@rel32@hi+12
	s_branch .LBB2_421
.LBB2_420:                              ;   in Loop: Header=BB2_421 Depth=3
	s_or_b32 exec_lo, exec_lo, s16
	s_sub_u32 s10, s10, s12
	s_subb_u32 s11, s11, s13
	s_add_u32 s8, s8, s12
	s_addc_u32 s9, s9, s13
	s_cmp_lg_u64 s[10:11], 0
	s_cbranch_scc0 .LBB2_496
.LBB2_421:                              ;   Parent Loop BB2_13 Depth=1
                                        ;     Parent Loop BB2_214 Depth=2
                                        ; =>    This Loop Header: Depth=3
                                        ;         Child Loop BB2_424 Depth 4
                                        ;         Child Loop BB2_431 Depth 4
	;; [unrolled: 1-line block ×11, first 2 shown]
	v_cmp_lt_u64_e64 s4, s[10:11], 56
	v_cmp_gt_u64_e64 s14, s[10:11], 7
	s_and_b32 s4, s4, exec_lo
	s_cselect_b32 s13, s11, 0
	s_cselect_b32 s12, s10, 56
	s_add_u32 s4, s8, 8
	s_addc_u32 s5, s9, 0
	s_and_b32 vcc_lo, exec_lo, s14
	s_cbranch_vccnz .LBB2_426
; %bb.422:                              ;   in Loop: Header=BB2_421 Depth=3
	s_waitcnt vmcnt(0)
	v_mov_b32_e32 v7, 0
	v_mov_b32_e32 v8, 0
	s_cmp_eq_u64 s[10:11], 0
	s_cbranch_scc1 .LBB2_425
; %bb.423:                              ;   in Loop: Header=BB2_421 Depth=3
	s_lshl_b64 s[4:5], s[12:13], 3
	s_mov_b64 s[14:15], 0
	s_mov_b64 s[16:17], s[8:9]
.LBB2_424:                              ;   Parent Loop BB2_13 Depth=1
                                        ;     Parent Loop BB2_214 Depth=2
                                        ;       Parent Loop BB2_421 Depth=3
                                        ; =>      This Inner Loop Header: Depth=4
	global_load_ubyte v2, v44, s[16:17]
	s_waitcnt vmcnt(0)
	v_and_b32_e32 v43, 0xffff, v2
	v_lshlrev_b64 v[2:3], s14, v[43:44]
	s_add_u32 s14, s14, 8
	s_addc_u32 s15, s15, 0
	s_add_u32 s16, s16, 1
	s_addc_u32 s17, s17, 0
	s_cmp_lg_u32 s4, s14
	v_or_b32_e32 v7, v2, v7
	v_or_b32_e32 v8, v3, v8
	s_cbranch_scc1 .LBB2_424
.LBB2_425:                              ;   in Loop: Header=BB2_421 Depth=3
	s_mov_b64 s[4:5], s[8:9]
	s_mov_b32 s22, 0
	s_cbranch_execz .LBB2_427
	s_branch .LBB2_428
.LBB2_426:                              ;   in Loop: Header=BB2_421 Depth=3
	s_mov_b32 s22, 0
.LBB2_427:                              ;   in Loop: Header=BB2_421 Depth=3
	global_load_dwordx2 v[7:8], v44, s[8:9]
	s_add_i32 s22, s12, -8
.LBB2_428:                              ;   in Loop: Header=BB2_421 Depth=3
	s_add_u32 s14, s4, 8
	s_addc_u32 s15, s5, 0
	s_cmp_gt_u32 s22, 7
	s_cbranch_scc1 .LBB2_433
; %bb.429:                              ;   in Loop: Header=BB2_421 Depth=3
	v_mov_b32_e32 v9, 0
	v_mov_b32_e32 v10, 0
	s_cmp_eq_u32 s22, 0
	s_cbranch_scc1 .LBB2_432
; %bb.430:                              ;   in Loop: Header=BB2_421 Depth=3
	s_mov_b64 s[14:15], 0
	s_mov_b64 s[16:17], 0
.LBB2_431:                              ;   Parent Loop BB2_13 Depth=1
                                        ;     Parent Loop BB2_214 Depth=2
                                        ;       Parent Loop BB2_421 Depth=3
                                        ; =>      This Inner Loop Header: Depth=4
	s_add_u32 s24, s4, s16
	s_addc_u32 s25, s5, s17
	s_add_u32 s16, s16, 1
	global_load_ubyte v2, v44, s[24:25]
	s_addc_u32 s17, s17, 0
	s_waitcnt vmcnt(0)
	v_and_b32_e32 v43, 0xffff, v2
	v_lshlrev_b64 v[2:3], s14, v[43:44]
	s_add_u32 s14, s14, 8
	s_addc_u32 s15, s15, 0
	s_cmp_lg_u32 s22, s16
	v_or_b32_e32 v9, v2, v9
	v_or_b32_e32 v10, v3, v10
	s_cbranch_scc1 .LBB2_431
.LBB2_432:                              ;   in Loop: Header=BB2_421 Depth=3
	s_mov_b64 s[14:15], s[4:5]
	s_mov_b32 s23, 0
	s_cbranch_execz .LBB2_434
	s_branch .LBB2_435
.LBB2_433:                              ;   in Loop: Header=BB2_421 Depth=3
                                        ; implicit-def: $vgpr9_vgpr10
	s_mov_b32 s23, 0
.LBB2_434:                              ;   in Loop: Header=BB2_421 Depth=3
	global_load_dwordx2 v[9:10], v44, s[4:5]
	s_add_i32 s23, s22, -8
.LBB2_435:                              ;   in Loop: Header=BB2_421 Depth=3
	s_add_u32 s4, s14, 8
	s_addc_u32 s5, s15, 0
	s_cmp_gt_u32 s23, 7
	s_cbranch_scc1 .LBB2_440
; %bb.436:                              ;   in Loop: Header=BB2_421 Depth=3
	v_mov_b32_e32 v11, 0
	v_mov_b32_e32 v12, 0
	s_cmp_eq_u32 s23, 0
	s_cbranch_scc1 .LBB2_439
; %bb.437:                              ;   in Loop: Header=BB2_421 Depth=3
	s_mov_b64 s[4:5], 0
	s_mov_b64 s[16:17], 0
.LBB2_438:                              ;   Parent Loop BB2_13 Depth=1
                                        ;     Parent Loop BB2_214 Depth=2
                                        ;       Parent Loop BB2_421 Depth=3
                                        ; =>      This Inner Loop Header: Depth=4
	s_add_u32 s24, s14, s16
	s_addc_u32 s25, s15, s17
	s_add_u32 s16, s16, 1
	global_load_ubyte v2, v44, s[24:25]
	s_addc_u32 s17, s17, 0
	s_waitcnt vmcnt(0)
	v_and_b32_e32 v43, 0xffff, v2
	v_lshlrev_b64 v[2:3], s4, v[43:44]
	s_add_u32 s4, s4, 8
	s_addc_u32 s5, s5, 0
	s_cmp_lg_u32 s23, s16
	v_or_b32_e32 v11, v2, v11
	v_or_b32_e32 v12, v3, v12
	s_cbranch_scc1 .LBB2_438
.LBB2_439:                              ;   in Loop: Header=BB2_421 Depth=3
	s_mov_b64 s[4:5], s[14:15]
	s_mov_b32 s22, 0
	s_cbranch_execz .LBB2_441
	s_branch .LBB2_442
.LBB2_440:                              ;   in Loop: Header=BB2_421 Depth=3
	s_mov_b32 s22, 0
.LBB2_441:                              ;   in Loop: Header=BB2_421 Depth=3
	global_load_dwordx2 v[11:12], v44, s[14:15]
	s_add_i32 s22, s23, -8
.LBB2_442:                              ;   in Loop: Header=BB2_421 Depth=3
	s_add_u32 s14, s4, 8
	s_addc_u32 s15, s5, 0
	s_cmp_gt_u32 s22, 7
	s_cbranch_scc1 .LBB2_447
; %bb.443:                              ;   in Loop: Header=BB2_421 Depth=3
	v_mov_b32_e32 v13, 0
	v_mov_b32_e32 v14, 0
	s_cmp_eq_u32 s22, 0
	s_cbranch_scc1 .LBB2_446
; %bb.444:                              ;   in Loop: Header=BB2_421 Depth=3
	s_mov_b64 s[14:15], 0
	s_mov_b64 s[16:17], 0
.LBB2_445:                              ;   Parent Loop BB2_13 Depth=1
                                        ;     Parent Loop BB2_214 Depth=2
                                        ;       Parent Loop BB2_421 Depth=3
                                        ; =>      This Inner Loop Header: Depth=4
	s_add_u32 s24, s4, s16
	s_addc_u32 s25, s5, s17
	s_add_u32 s16, s16, 1
	global_load_ubyte v2, v44, s[24:25]
	s_addc_u32 s17, s17, 0
	s_waitcnt vmcnt(0)
	v_and_b32_e32 v43, 0xffff, v2
	v_lshlrev_b64 v[2:3], s14, v[43:44]
	s_add_u32 s14, s14, 8
	s_addc_u32 s15, s15, 0
	s_cmp_lg_u32 s22, s16
	v_or_b32_e32 v13, v2, v13
	v_or_b32_e32 v14, v3, v14
	s_cbranch_scc1 .LBB2_445
.LBB2_446:                              ;   in Loop: Header=BB2_421 Depth=3
	s_mov_b64 s[14:15], s[4:5]
	s_mov_b32 s23, 0
	s_cbranch_execz .LBB2_448
	s_branch .LBB2_449
.LBB2_447:                              ;   in Loop: Header=BB2_421 Depth=3
                                        ; implicit-def: $vgpr13_vgpr14
	s_mov_b32 s23, 0
.LBB2_448:                              ;   in Loop: Header=BB2_421 Depth=3
	global_load_dwordx2 v[13:14], v44, s[4:5]
	s_add_i32 s23, s22, -8
.LBB2_449:                              ;   in Loop: Header=BB2_421 Depth=3
	s_add_u32 s4, s14, 8
	s_addc_u32 s5, s15, 0
	s_cmp_gt_u32 s23, 7
	s_cbranch_scc1 .LBB2_454
; %bb.450:                              ;   in Loop: Header=BB2_421 Depth=3
	v_mov_b32_e32 v15, 0
	v_mov_b32_e32 v16, 0
	s_cmp_eq_u32 s23, 0
	s_cbranch_scc1 .LBB2_453
; %bb.451:                              ;   in Loop: Header=BB2_421 Depth=3
	s_mov_b64 s[4:5], 0
	s_mov_b64 s[16:17], 0
.LBB2_452:                              ;   Parent Loop BB2_13 Depth=1
                                        ;     Parent Loop BB2_214 Depth=2
                                        ;       Parent Loop BB2_421 Depth=3
                                        ; =>      This Inner Loop Header: Depth=4
	s_add_u32 s24, s14, s16
	s_addc_u32 s25, s15, s17
	s_add_u32 s16, s16, 1
	global_load_ubyte v2, v44, s[24:25]
	s_addc_u32 s17, s17, 0
	s_waitcnt vmcnt(0)
	v_and_b32_e32 v43, 0xffff, v2
	v_lshlrev_b64 v[2:3], s4, v[43:44]
	s_add_u32 s4, s4, 8
	s_addc_u32 s5, s5, 0
	s_cmp_lg_u32 s23, s16
	v_or_b32_e32 v15, v2, v15
	v_or_b32_e32 v16, v3, v16
	s_cbranch_scc1 .LBB2_452
.LBB2_453:                              ;   in Loop: Header=BB2_421 Depth=3
	s_mov_b64 s[4:5], s[14:15]
	s_mov_b32 s22, 0
	s_cbranch_execz .LBB2_455
	s_branch .LBB2_456
.LBB2_454:                              ;   in Loop: Header=BB2_421 Depth=3
	s_mov_b32 s22, 0
.LBB2_455:                              ;   in Loop: Header=BB2_421 Depth=3
	global_load_dwordx2 v[15:16], v44, s[14:15]
	s_add_i32 s22, s23, -8
.LBB2_456:                              ;   in Loop: Header=BB2_421 Depth=3
	s_add_u32 s14, s4, 8
	s_addc_u32 s15, s5, 0
	s_cmp_gt_u32 s22, 7
	s_cbranch_scc1 .LBB2_461
; %bb.457:                              ;   in Loop: Header=BB2_421 Depth=3
	v_mov_b32_e32 v17, 0
	v_mov_b32_e32 v18, 0
	s_cmp_eq_u32 s22, 0
	s_cbranch_scc1 .LBB2_460
; %bb.458:                              ;   in Loop: Header=BB2_421 Depth=3
	s_mov_b64 s[14:15], 0
	s_mov_b64 s[16:17], 0
.LBB2_459:                              ;   Parent Loop BB2_13 Depth=1
                                        ;     Parent Loop BB2_214 Depth=2
                                        ;       Parent Loop BB2_421 Depth=3
                                        ; =>      This Inner Loop Header: Depth=4
	s_add_u32 s24, s4, s16
	s_addc_u32 s25, s5, s17
	s_add_u32 s16, s16, 1
	global_load_ubyte v2, v44, s[24:25]
	s_addc_u32 s17, s17, 0
	s_waitcnt vmcnt(0)
	v_and_b32_e32 v43, 0xffff, v2
	v_lshlrev_b64 v[2:3], s14, v[43:44]
	s_add_u32 s14, s14, 8
	s_addc_u32 s15, s15, 0
	s_cmp_lg_u32 s22, s16
	v_or_b32_e32 v17, v2, v17
	v_or_b32_e32 v18, v3, v18
	s_cbranch_scc1 .LBB2_459
.LBB2_460:                              ;   in Loop: Header=BB2_421 Depth=3
	s_mov_b64 s[14:15], s[4:5]
	s_mov_b32 s23, 0
	s_cbranch_execz .LBB2_462
	s_branch .LBB2_463
.LBB2_461:                              ;   in Loop: Header=BB2_421 Depth=3
                                        ; implicit-def: $vgpr17_vgpr18
	s_mov_b32 s23, 0
.LBB2_462:                              ;   in Loop: Header=BB2_421 Depth=3
	global_load_dwordx2 v[17:18], v44, s[4:5]
	s_add_i32 s23, s22, -8
.LBB2_463:                              ;   in Loop: Header=BB2_421 Depth=3
	s_cmp_gt_u32 s23, 7
	s_cbranch_scc1 .LBB2_468
; %bb.464:                              ;   in Loop: Header=BB2_421 Depth=3
	v_mov_b32_e32 v19, 0
	v_mov_b32_e32 v20, 0
	s_cmp_eq_u32 s23, 0
	s_cbranch_scc1 .LBB2_467
; %bb.465:                              ;   in Loop: Header=BB2_421 Depth=3
	s_mov_b64 s[4:5], 0
	s_mov_b64 s[16:17], s[14:15]
.LBB2_466:                              ;   Parent Loop BB2_13 Depth=1
                                        ;     Parent Loop BB2_214 Depth=2
                                        ;       Parent Loop BB2_421 Depth=3
                                        ; =>      This Inner Loop Header: Depth=4
	global_load_ubyte v2, v44, s[16:17]
	s_add_i32 s23, s23, -1
	s_waitcnt vmcnt(0)
	v_and_b32_e32 v43, 0xffff, v2
	v_lshlrev_b64 v[2:3], s4, v[43:44]
	s_add_u32 s4, s4, 8
	s_addc_u32 s5, s5, 0
	s_add_u32 s16, s16, 1
	s_addc_u32 s17, s17, 0
	s_cmp_lg_u32 s23, 0
	v_or_b32_e32 v19, v2, v19
	v_or_b32_e32 v20, v3, v20
	s_cbranch_scc1 .LBB2_466
.LBB2_467:                              ;   in Loop: Header=BB2_421 Depth=3
	s_cbranch_execz .LBB2_469
	s_branch .LBB2_470
.LBB2_468:                              ;   in Loop: Header=BB2_421 Depth=3
.LBB2_469:                              ;   in Loop: Header=BB2_421 Depth=3
	global_load_dwordx2 v[19:20], v44, s[14:15]
.LBB2_470:                              ;   in Loop: Header=BB2_421 Depth=3
	v_readfirstlane_b32 s4, v83
	v_mov_b32_e32 v2, 0
	v_mov_b32_e32 v3, 0
	v_cmp_eq_u32_e64 s4, s4, v83
	s_and_saveexec_b32 s5, s4
	s_cbranch_execz .LBB2_476
; %bb.471:                              ;   in Loop: Header=BB2_421 Depth=3
	global_load_dwordx2 v[23:24], v44, s[6:7] offset:24 glc dlc
	s_waitcnt vmcnt(0)
	buffer_gl1_inv
	buffer_gl0_inv
	s_clause 0x1
	global_load_dwordx2 v[2:3], v44, s[6:7] offset:40
	global_load_dwordx2 v[21:22], v44, s[6:7]
	s_mov_b32 s14, exec_lo
	s_waitcnt vmcnt(1)
	v_and_b32_e32 v3, v3, v24
	v_and_b32_e32 v2, v2, v23
	v_mul_lo_u32 v3, v3, 24
	v_mul_hi_u32 v31, v2, 24
	v_mul_lo_u32 v2, v2, 24
	v_add_nc_u32_e32 v3, v31, v3
	s_waitcnt vmcnt(0)
	v_add_co_u32 v2, vcc_lo, v21, v2
	v_add_co_ci_u32_e64 v3, null, v22, v3, vcc_lo
	global_load_dwordx2 v[21:22], v[2:3], off glc dlc
	s_waitcnt vmcnt(0)
	global_atomic_cmpswap_x2 v[2:3], v44, v[21:24], s[6:7] offset:24 glc
	s_waitcnt vmcnt(0)
	buffer_gl1_inv
	buffer_gl0_inv
	v_cmpx_ne_u64_e64 v[2:3], v[23:24]
	s_cbranch_execz .LBB2_475
; %bb.472:                              ;   in Loop: Header=BB2_421 Depth=3
	s_mov_b32 s15, 0
	.p2align	6
.LBB2_473:                              ;   Parent Loop BB2_13 Depth=1
                                        ;     Parent Loop BB2_214 Depth=2
                                        ;       Parent Loop BB2_421 Depth=3
                                        ; =>      This Inner Loop Header: Depth=4
	s_sleep 1
	s_clause 0x1
	global_load_dwordx2 v[21:22], v44, s[6:7] offset:40
	global_load_dwordx2 v[31:32], v44, s[6:7]
	v_mov_b32_e32 v24, v3
	v_mov_b32_e32 v23, v2
	s_waitcnt vmcnt(1)
	v_and_b32_e32 v2, v21, v23
	v_and_b32_e32 v21, v22, v24
	s_waitcnt vmcnt(0)
	v_mad_u64_u32 v[2:3], null, v2, 24, v[31:32]
	v_mad_u64_u32 v[21:22], null, v21, 24, v[3:4]
	v_mov_b32_e32 v3, v21
	global_load_dwordx2 v[21:22], v[2:3], off glc dlc
	s_waitcnt vmcnt(0)
	global_atomic_cmpswap_x2 v[2:3], v44, v[21:24], s[6:7] offset:24 glc
	s_waitcnt vmcnt(0)
	buffer_gl1_inv
	buffer_gl0_inv
	v_cmp_eq_u64_e32 vcc_lo, v[2:3], v[23:24]
	s_or_b32 s15, vcc_lo, s15
	s_andn2_b32 exec_lo, exec_lo, s15
	s_cbranch_execnz .LBB2_473
; %bb.474:                              ;   in Loop: Header=BB2_421 Depth=3
	s_or_b32 exec_lo, exec_lo, s15
.LBB2_475:                              ;   in Loop: Header=BB2_421 Depth=3
	s_or_b32 exec_lo, exec_lo, s14
.LBB2_476:                              ;   in Loop: Header=BB2_421 Depth=3
	s_or_b32 exec_lo, exec_lo, s5
	s_clause 0x1
	global_load_dwordx2 v[31:32], v44, s[6:7] offset:40
	global_load_dwordx4 v[21:24], v44, s[6:7]
	v_readfirstlane_b32 s15, v3
	v_readfirstlane_b32 s14, v2
	s_mov_b32 s5, exec_lo
	s_waitcnt vmcnt(1)
	v_readfirstlane_b32 s16, v31
	v_readfirstlane_b32 s17, v32
	s_and_b64 s[16:17], s[16:17], s[14:15]
	s_mul_i32 s22, s17, 24
	s_mul_hi_u32 s23, s16, 24
	s_mul_i32 s24, s16, 24
	s_add_i32 s23, s23, s22
	s_waitcnt vmcnt(0)
	v_add_co_u32 v2, vcc_lo, v21, s24
	v_add_co_ci_u32_e64 v3, null, s23, v22, vcc_lo
	s_and_saveexec_b32 s22, s4
	s_cbranch_execz .LBB2_478
; %bb.477:                              ;   in Loop: Header=BB2_421 Depth=3
	v_mov_b32_e32 v43, s5
	global_store_dwordx4 v[2:3], v[43:46], off offset:8
.LBB2_478:                              ;   in Loop: Header=BB2_421 Depth=3
	s_or_b32 exec_lo, exec_lo, s22
	v_cmp_gt_u64_e64 s5, s[10:11], 56
	s_lshl_b64 s[16:17], s[16:17], 12
	v_and_b32_e32 v5, 0xffffff1f, v5
	v_add_co_u32 v23, vcc_lo, v23, s16
	v_add_co_ci_u32_e64 v24, null, s17, v24, vcc_lo
	s_and_b32 s5, s5, exec_lo
	s_cselect_b32 s5, 0, 2
	s_lshl_b32 s22, s12, 2
	v_or_b32_e32 v5, s5, v5
	v_readfirstlane_b32 s16, v23
	v_readfirstlane_b32 s17, v24
	s_add_i32 s22, s22, 28
	v_and_or_b32 v5, 0x1e0, s22, v5
	global_store_dwordx4 v30, v[9:12], s[16:17] offset:16
	global_store_dwordx4 v30, v[13:16], s[16:17] offset:32
	global_store_dwordx4 v30, v[5:8], s[16:17]
	global_store_dwordx4 v30, v[17:20], s[16:17] offset:48
	s_and_saveexec_b32 s5, s4
	s_cbranch_execz .LBB2_486
; %bb.479:                              ;   in Loop: Header=BB2_421 Depth=3
	s_clause 0x1
	global_load_dwordx2 v[13:14], v44, s[6:7] offset:32 glc dlc
	global_load_dwordx2 v[5:6], v44, s[6:7] offset:40
	v_mov_b32_e32 v11, s14
	v_mov_b32_e32 v12, s15
	s_waitcnt vmcnt(0)
	v_readfirstlane_b32 s16, v5
	v_readfirstlane_b32 s17, v6
	s_and_b64 s[16:17], s[16:17], s[14:15]
	s_mul_i32 s17, s17, 24
	s_mul_hi_u32 s22, s16, 24
	s_mul_i32 s16, s16, 24
	s_add_i32 s22, s22, s17
	v_add_co_u32 v9, vcc_lo, v21, s16
	v_add_co_ci_u32_e64 v10, null, s22, v22, vcc_lo
	s_mov_b32 s16, exec_lo
	global_store_dwordx2 v[9:10], v[13:14], off
	s_waitcnt_vscnt null, 0x0
	global_atomic_cmpswap_x2 v[7:8], v44, v[11:14], s[6:7] offset:32 glc
	s_waitcnt vmcnt(0)
	v_cmpx_ne_u64_e64 v[7:8], v[13:14]
	s_cbranch_execz .LBB2_482
; %bb.480:                              ;   in Loop: Header=BB2_421 Depth=3
	s_mov_b32 s17, 0
.LBB2_481:                              ;   Parent Loop BB2_13 Depth=1
                                        ;     Parent Loop BB2_214 Depth=2
                                        ;       Parent Loop BB2_421 Depth=3
                                        ; =>      This Inner Loop Header: Depth=4
	v_mov_b32_e32 v5, s14
	v_mov_b32_e32 v6, s15
	s_sleep 1
	global_store_dwordx2 v[9:10], v[7:8], off
	s_waitcnt_vscnt null, 0x0
	global_atomic_cmpswap_x2 v[5:6], v44, v[5:8], s[6:7] offset:32 glc
	s_waitcnt vmcnt(0)
	v_cmp_eq_u64_e32 vcc_lo, v[5:6], v[7:8]
	v_mov_b32_e32 v8, v6
	v_mov_b32_e32 v7, v5
	s_or_b32 s17, vcc_lo, s17
	s_andn2_b32 exec_lo, exec_lo, s17
	s_cbranch_execnz .LBB2_481
.LBB2_482:                              ;   in Loop: Header=BB2_421 Depth=3
	s_or_b32 exec_lo, exec_lo, s16
	global_load_dwordx2 v[5:6], v44, s[6:7] offset:16
	s_mov_b32 s17, exec_lo
	s_mov_b32 s16, exec_lo
	v_mbcnt_lo_u32_b32 v7, s17, 0
	v_cmpx_eq_u32_e32 0, v7
	s_cbranch_execz .LBB2_484
; %bb.483:                              ;   in Loop: Header=BB2_421 Depth=3
	s_bcnt1_i32_b32 s17, s17
	v_mov_b32_e32 v43, s17
	s_waitcnt vmcnt(0)
	global_atomic_add_x2 v[5:6], v[43:44], off offset:8
.LBB2_484:                              ;   in Loop: Header=BB2_421 Depth=3
	s_or_b32 exec_lo, exec_lo, s16
	s_waitcnt vmcnt(0)
	global_load_dwordx2 v[7:8], v[5:6], off offset:16
	s_waitcnt vmcnt(0)
	v_cmp_eq_u64_e32 vcc_lo, 0, v[7:8]
	s_cbranch_vccnz .LBB2_486
; %bb.485:                              ;   in Loop: Header=BB2_421 Depth=3
	global_load_dword v43, v[5:6], off offset:24
	s_waitcnt vmcnt(0)
	v_readfirstlane_b32 s16, v43
	s_waitcnt_vscnt null, 0x0
	global_store_dwordx2 v[7:8], v[43:44], off
	s_and_b32 m0, s16, 0x7fffff
	s_sendmsg sendmsg(MSG_INTERRUPT)
.LBB2_486:                              ;   in Loop: Header=BB2_421 Depth=3
	s_or_b32 exec_lo, exec_lo, s5
	v_add_co_u32 v5, vcc_lo, v23, v30
	v_add_co_ci_u32_e64 v6, null, 0, v24, vcc_lo
	s_branch .LBB2_490
	.p2align	6
.LBB2_487:                              ;   in Loop: Header=BB2_490 Depth=4
	s_or_b32 exec_lo, exec_lo, s5
	v_readfirstlane_b32 s5, v7
	s_cmp_eq_u32 s5, 0
	s_cbranch_scc1 .LBB2_489
; %bb.488:                              ;   in Loop: Header=BB2_490 Depth=4
	s_sleep 1
	s_cbranch_execnz .LBB2_490
	s_branch .LBB2_492
	.p2align	6
.LBB2_489:                              ;   in Loop: Header=BB2_421 Depth=3
	s_branch .LBB2_492
.LBB2_490:                              ;   Parent Loop BB2_13 Depth=1
                                        ;     Parent Loop BB2_214 Depth=2
                                        ;       Parent Loop BB2_421 Depth=3
                                        ; =>      This Inner Loop Header: Depth=4
	v_mov_b32_e32 v7, 1
	s_and_saveexec_b32 s5, s4
	s_cbranch_execz .LBB2_487
; %bb.491:                              ;   in Loop: Header=BB2_490 Depth=4
	global_load_dword v7, v[2:3], off offset:20 glc dlc
	s_waitcnt vmcnt(0)
	buffer_gl1_inv
	buffer_gl0_inv
	v_and_b32_e32 v7, 1, v7
	s_branch .LBB2_487
.LBB2_492:                              ;   in Loop: Header=BB2_421 Depth=3
	global_load_dwordx4 v[5:8], v[5:6], off
	s_and_saveexec_b32 s16, s4
	s_cbranch_execz .LBB2_420
; %bb.493:                              ;   in Loop: Header=BB2_421 Depth=3
	s_clause 0x2
	global_load_dwordx2 v[2:3], v44, s[6:7] offset:40
	global_load_dwordx2 v[11:12], v44, s[6:7] offset:24 glc dlc
	global_load_dwordx2 v[7:8], v44, s[6:7]
	s_waitcnt vmcnt(2)
	v_readfirstlane_b32 s22, v2
	v_readfirstlane_b32 s23, v3
	s_add_u32 s17, s22, 1
	s_addc_u32 s24, s23, 0
	s_add_u32 s4, s17, s14
	s_addc_u32 s5, s24, s15
	s_cmp_eq_u64 s[4:5], 0
	s_cselect_b32 s5, s24, s5
	s_cselect_b32 s4, s17, s4
	v_mov_b32_e32 v10, s5
	s_and_b64 s[14:15], s[4:5], s[22:23]
	v_mov_b32_e32 v9, s4
	s_mul_i32 s15, s15, 24
	s_mul_hi_u32 s17, s14, 24
	s_mul_i32 s14, s14, 24
	s_add_i32 s17, s17, s15
	s_waitcnt vmcnt(0)
	v_add_co_u32 v2, vcc_lo, v7, s14
	v_add_co_ci_u32_e64 v3, null, s17, v8, vcc_lo
	global_store_dwordx2 v[2:3], v[11:12], off
	s_waitcnt_vscnt null, 0x0
	global_atomic_cmpswap_x2 v[9:10], v44, v[9:12], s[6:7] offset:24 glc
	s_waitcnt vmcnt(0)
	v_cmp_ne_u64_e32 vcc_lo, v[9:10], v[11:12]
	s_and_b32 exec_lo, exec_lo, vcc_lo
	s_cbranch_execz .LBB2_420
; %bb.494:                              ;   in Loop: Header=BB2_421 Depth=3
	s_mov_b32 s14, 0
.LBB2_495:                              ;   Parent Loop BB2_13 Depth=1
                                        ;     Parent Loop BB2_214 Depth=2
                                        ;       Parent Loop BB2_421 Depth=3
                                        ; =>      This Inner Loop Header: Depth=4
	v_mov_b32_e32 v7, s4
	v_mov_b32_e32 v8, s5
	s_sleep 1
	global_store_dwordx2 v[2:3], v[9:10], off
	s_waitcnt_vscnt null, 0x0
	global_atomic_cmpswap_x2 v[7:8], v44, v[7:10], s[6:7] offset:24 glc
	s_waitcnt vmcnt(0)
	v_cmp_eq_u64_e32 vcc_lo, v[7:8], v[9:10]
	v_mov_b32_e32 v10, v8
	v_mov_b32_e32 v9, v7
	s_or_b32 s14, vcc_lo, s14
	s_andn2_b32 exec_lo, exec_lo, s14
	s_cbranch_execnz .LBB2_495
	s_branch .LBB2_420
.LBB2_496:                              ;   in Loop: Header=BB2_214 Depth=2
	s_branch .LBB2_524
.LBB2_497:                              ;   in Loop: Header=BB2_214 Depth=2
	s_cbranch_execz .LBB2_524
; %bb.498:                              ;   in Loop: Header=BB2_214 Depth=2
	v_readfirstlane_b32 s4, v83
	v_mov_b32_e32 v2, 0
	v_mov_b32_e32 v3, 0
	v_cmp_eq_u32_e64 s4, s4, v83
	s_and_saveexec_b32 s5, s4
	s_cbranch_execz .LBB2_504
; %bb.499:                              ;   in Loop: Header=BB2_214 Depth=2
	global_load_dwordx2 v[7:8], v44, s[6:7] offset:24 glc dlc
	s_waitcnt vmcnt(0)
	buffer_gl1_inv
	buffer_gl0_inv
	s_clause 0x1
	global_load_dwordx2 v[2:3], v44, s[6:7] offset:40
	global_load_dwordx2 v[5:6], v44, s[6:7]
	s_mov_b32 s8, exec_lo
	s_waitcnt vmcnt(1)
	v_and_b32_e32 v3, v3, v8
	v_and_b32_e32 v2, v2, v7
	v_mul_lo_u32 v3, v3, 24
	v_mul_hi_u32 v9, v2, 24
	v_mul_lo_u32 v2, v2, 24
	v_add_nc_u32_e32 v3, v9, v3
	s_waitcnt vmcnt(0)
	v_add_co_u32 v2, vcc_lo, v5, v2
	v_add_co_ci_u32_e64 v3, null, v6, v3, vcc_lo
	global_load_dwordx2 v[5:6], v[2:3], off glc dlc
	s_waitcnt vmcnt(0)
	global_atomic_cmpswap_x2 v[2:3], v44, v[5:8], s[6:7] offset:24 glc
	s_waitcnt vmcnt(0)
	buffer_gl1_inv
	buffer_gl0_inv
	v_cmpx_ne_u64_e64 v[2:3], v[7:8]
	s_cbranch_execz .LBB2_503
; %bb.500:                              ;   in Loop: Header=BB2_214 Depth=2
	s_mov_b32 s9, 0
	.p2align	6
.LBB2_501:                              ;   Parent Loop BB2_13 Depth=1
                                        ;     Parent Loop BB2_214 Depth=2
                                        ; =>    This Inner Loop Header: Depth=3
	s_sleep 1
	s_clause 0x1
	global_load_dwordx2 v[5:6], v44, s[6:7] offset:40
	global_load_dwordx2 v[9:10], v44, s[6:7]
	v_mov_b32_e32 v8, v3
	v_mov_b32_e32 v7, v2
	s_waitcnt vmcnt(1)
	v_and_b32_e32 v2, v5, v7
	v_and_b32_e32 v5, v6, v8
	s_waitcnt vmcnt(0)
	v_mad_u64_u32 v[2:3], null, v2, 24, v[9:10]
	v_mad_u64_u32 v[5:6], null, v5, 24, v[3:4]
	v_mov_b32_e32 v3, v5
	global_load_dwordx2 v[5:6], v[2:3], off glc dlc
	s_waitcnt vmcnt(0)
	global_atomic_cmpswap_x2 v[2:3], v44, v[5:8], s[6:7] offset:24 glc
	s_waitcnt vmcnt(0)
	buffer_gl1_inv
	buffer_gl0_inv
	v_cmp_eq_u64_e32 vcc_lo, v[2:3], v[7:8]
	s_or_b32 s9, vcc_lo, s9
	s_andn2_b32 exec_lo, exec_lo, s9
	s_cbranch_execnz .LBB2_501
; %bb.502:                              ;   in Loop: Header=BB2_214 Depth=2
	s_or_b32 exec_lo, exec_lo, s9
.LBB2_503:                              ;   in Loop: Header=BB2_214 Depth=2
	s_or_b32 exec_lo, exec_lo, s8
.LBB2_504:                              ;   in Loop: Header=BB2_214 Depth=2
	s_or_b32 exec_lo, exec_lo, s5
	s_clause 0x1
	global_load_dwordx2 v[9:10], v44, s[6:7] offset:40
	global_load_dwordx4 v[5:8], v44, s[6:7]
	v_readfirstlane_b32 s9, v3
	v_readfirstlane_b32 s8, v2
	s_mov_b32 s5, exec_lo
	s_waitcnt vmcnt(1)
	v_readfirstlane_b32 s10, v9
	v_readfirstlane_b32 s11, v10
	s_and_b64 s[10:11], s[10:11], s[8:9]
	s_mul_i32 s12, s11, 24
	s_mul_hi_u32 s13, s10, 24
	s_mul_i32 s14, s10, 24
	s_add_i32 s13, s13, s12
	s_waitcnt vmcnt(0)
	v_add_co_u32 v9, vcc_lo, v5, s14
	v_add_co_ci_u32_e64 v10, null, s13, v6, vcc_lo
	s_and_saveexec_b32 s12, s4
	s_cbranch_execz .LBB2_506
; %bb.505:                              ;   in Loop: Header=BB2_214 Depth=2
	v_mov_b32_e32 v43, s5
	global_store_dwordx4 v[9:10], v[43:46], off offset:8
.LBB2_506:                              ;   in Loop: Header=BB2_214 Depth=2
	s_or_b32 exec_lo, exec_lo, s12
	s_lshl_b64 s[10:11], s[10:11], 12
	s_mov_b32 s41, s40
	v_add_co_u32 v7, vcc_lo, v7, s10
	v_add_co_ci_u32_e64 v8, null, s11, v8, vcc_lo
	s_mov_b32 s42, s40
	s_mov_b32 s43, s40
	v_and_or_b32 v0, 0xffffff1d, v0, 34
	v_mov_b32_e32 v2, v44
	v_mov_b32_e32 v3, v44
	v_readfirstlane_b32 s10, v7
	v_readfirstlane_b32 s11, v8
	v_mov_b32_e32 v11, s40
	v_mov_b32_e32 v12, s41
	;; [unrolled: 1-line block ×4, first 2 shown]
	global_store_dwordx4 v30, v[0:3], s[10:11]
	global_store_dwordx4 v30, v[11:14], s[10:11] offset:16
	global_store_dwordx4 v30, v[11:14], s[10:11] offset:32
	;; [unrolled: 1-line block ×3, first 2 shown]
	s_and_saveexec_b32 s5, s4
	s_cbranch_execz .LBB2_514
; %bb.507:                              ;   in Loop: Header=BB2_214 Depth=2
	s_clause 0x1
	global_load_dwordx2 v[13:14], v44, s[6:7] offset:32 glc dlc
	global_load_dwordx2 v[0:1], v44, s[6:7] offset:40
	v_mov_b32_e32 v11, s8
	v_mov_b32_e32 v12, s9
	s_waitcnt vmcnt(0)
	v_readfirstlane_b32 s10, v0
	v_readfirstlane_b32 s11, v1
	s_and_b64 s[10:11], s[10:11], s[8:9]
	s_mul_i32 s11, s11, 24
	s_mul_hi_u32 s12, s10, 24
	s_mul_i32 s10, s10, 24
	s_add_i32 s12, s12, s11
	v_add_co_u32 v5, vcc_lo, v5, s10
	v_add_co_ci_u32_e64 v6, null, s12, v6, vcc_lo
	s_mov_b32 s10, exec_lo
	global_store_dwordx2 v[5:6], v[13:14], off
	s_waitcnt_vscnt null, 0x0
	global_atomic_cmpswap_x2 v[2:3], v44, v[11:14], s[6:7] offset:32 glc
	s_waitcnt vmcnt(0)
	v_cmpx_ne_u64_e64 v[2:3], v[13:14]
	s_cbranch_execz .LBB2_510
; %bb.508:                              ;   in Loop: Header=BB2_214 Depth=2
	s_mov_b32 s11, 0
.LBB2_509:                              ;   Parent Loop BB2_13 Depth=1
                                        ;     Parent Loop BB2_214 Depth=2
                                        ; =>    This Inner Loop Header: Depth=3
	v_mov_b32_e32 v0, s8
	v_mov_b32_e32 v1, s9
	s_sleep 1
	global_store_dwordx2 v[5:6], v[2:3], off
	s_waitcnt_vscnt null, 0x0
	global_atomic_cmpswap_x2 v[0:1], v44, v[0:3], s[6:7] offset:32 glc
	s_waitcnt vmcnt(0)
	v_cmp_eq_u64_e32 vcc_lo, v[0:1], v[2:3]
	v_mov_b32_e32 v3, v1
	v_mov_b32_e32 v2, v0
	s_or_b32 s11, vcc_lo, s11
	s_andn2_b32 exec_lo, exec_lo, s11
	s_cbranch_execnz .LBB2_509
.LBB2_510:                              ;   in Loop: Header=BB2_214 Depth=2
	s_or_b32 exec_lo, exec_lo, s10
	global_load_dwordx2 v[0:1], v44, s[6:7] offset:16
	s_mov_b32 s11, exec_lo
	s_mov_b32 s10, exec_lo
	v_mbcnt_lo_u32_b32 v2, s11, 0
	v_cmpx_eq_u32_e32 0, v2
	s_cbranch_execz .LBB2_512
; %bb.511:                              ;   in Loop: Header=BB2_214 Depth=2
	s_bcnt1_i32_b32 s11, s11
	v_mov_b32_e32 v43, s11
	s_waitcnt vmcnt(0)
	global_atomic_add_x2 v[0:1], v[43:44], off offset:8
.LBB2_512:                              ;   in Loop: Header=BB2_214 Depth=2
	s_or_b32 exec_lo, exec_lo, s10
	s_waitcnt vmcnt(0)
	global_load_dwordx2 v[2:3], v[0:1], off offset:16
	s_waitcnt vmcnt(0)
	v_cmp_eq_u64_e32 vcc_lo, 0, v[2:3]
	s_cbranch_vccnz .LBB2_514
; %bb.513:                              ;   in Loop: Header=BB2_214 Depth=2
	global_load_dword v43, v[0:1], off offset:24
	s_waitcnt vmcnt(0)
	v_readfirstlane_b32 s10, v43
	s_waitcnt_vscnt null, 0x0
	global_store_dwordx2 v[2:3], v[43:44], off
	s_and_b32 m0, s10, 0x7fffff
	s_sendmsg sendmsg(MSG_INTERRUPT)
.LBB2_514:                              ;   in Loop: Header=BB2_214 Depth=2
	s_or_b32 exec_lo, exec_lo, s5
	s_branch .LBB2_518
	.p2align	6
.LBB2_515:                              ;   in Loop: Header=BB2_518 Depth=3
	s_or_b32 exec_lo, exec_lo, s5
	v_readfirstlane_b32 s5, v0
	s_cmp_eq_u32 s5, 0
	s_cbranch_scc1 .LBB2_517
; %bb.516:                              ;   in Loop: Header=BB2_518 Depth=3
	s_sleep 1
	s_cbranch_execnz .LBB2_518
	s_branch .LBB2_520
	.p2align	6
.LBB2_517:                              ;   in Loop: Header=BB2_214 Depth=2
	s_branch .LBB2_520
.LBB2_518:                              ;   Parent Loop BB2_13 Depth=1
                                        ;     Parent Loop BB2_214 Depth=2
                                        ; =>    This Inner Loop Header: Depth=3
	v_mov_b32_e32 v0, 1
	s_and_saveexec_b32 s5, s4
	s_cbranch_execz .LBB2_515
; %bb.519:                              ;   in Loop: Header=BB2_518 Depth=3
	global_load_dword v0, v[9:10], off offset:20 glc dlc
	s_waitcnt vmcnt(0)
	buffer_gl1_inv
	buffer_gl0_inv
	v_and_b32_e32 v0, 1, v0
	s_branch .LBB2_515
.LBB2_520:                              ;   in Loop: Header=BB2_214 Depth=2
	s_and_b32 exec_lo, exec_lo, s4
	s_cbranch_execz .LBB2_524
; %bb.521:                              ;   in Loop: Header=BB2_214 Depth=2
	s_clause 0x2
	global_load_dwordx2 v[0:1], v44, s[6:7] offset:40
	global_load_dwordx2 v[9:10], v44, s[6:7] offset:24 glc dlc
	global_load_dwordx2 v[2:3], v44, s[6:7]
	s_waitcnt vmcnt(2)
	v_readfirstlane_b32 s10, v0
	v_readfirstlane_b32 s11, v1
	s_add_u32 s12, s10, 1
	s_addc_u32 s13, s11, 0
	s_add_u32 s4, s12, s8
	s_addc_u32 s5, s13, s9
	s_cmp_eq_u64 s[4:5], 0
	s_cselect_b32 s5, s13, s5
	s_cselect_b32 s4, s12, s4
	v_mov_b32_e32 v8, s5
	s_and_b64 s[8:9], s[4:5], s[10:11]
	v_mov_b32_e32 v7, s4
	s_mul_i32 s9, s9, 24
	s_mul_hi_u32 s10, s8, 24
	s_mul_i32 s8, s8, 24
	s_add_i32 s10, s10, s9
	s_waitcnt vmcnt(0)
	v_add_co_u32 v5, vcc_lo, v2, s8
	v_add_co_ci_u32_e64 v6, null, s10, v3, vcc_lo
	global_store_dwordx2 v[5:6], v[9:10], off
	s_waitcnt_vscnt null, 0x0
	global_atomic_cmpswap_x2 v[2:3], v44, v[7:10], s[6:7] offset:24 glc
	s_waitcnt vmcnt(0)
	v_cmp_ne_u64_e32 vcc_lo, v[2:3], v[9:10]
	s_and_b32 exec_lo, exec_lo, vcc_lo
	s_cbranch_execz .LBB2_524
; %bb.522:                              ;   in Loop: Header=BB2_214 Depth=2
	s_mov_b32 s8, 0
.LBB2_523:                              ;   Parent Loop BB2_13 Depth=1
                                        ;     Parent Loop BB2_214 Depth=2
                                        ; =>    This Inner Loop Header: Depth=3
	v_mov_b32_e32 v0, s4
	v_mov_b32_e32 v1, s5
	s_sleep 1
	global_store_dwordx2 v[5:6], v[2:3], off
	s_waitcnt_vscnt null, 0x0
	global_atomic_cmpswap_x2 v[0:1], v44, v[0:3], s[6:7] offset:24 glc
	s_waitcnt vmcnt(0)
	v_cmp_eq_u64_e32 vcc_lo, v[0:1], v[2:3]
	v_mov_b32_e32 v3, v1
	v_mov_b32_e32 v2, v0
	s_or_b32 s8, vcc_lo, s8
	s_andn2_b32 exec_lo, exec_lo, s8
	s_cbranch_execnz .LBB2_523
.LBB2_524:                              ;   in Loop: Header=BB2_214 Depth=2
	s_or_b32 exec_lo, exec_lo, s21
	buffer_load_ubyte v0, off, s[0:3], 0 offset:16
	v_mov_b32_e32 v2, 0x58
	s_mov_b32 s7, exec_lo
	global_store_byte v[25:26], v2, off offset:48
	global_store_dword v[25:26], v44, off offset:52
	v_cmpx_lt_i32_e32 0, v29
	s_cbranch_execz .LBB2_530
; %bb.525:                              ;   in Loop: Header=BB2_214 Depth=2
	s_mov_b32 s4, 0
                                        ; implicit-def: $vgpr1
	s_mov_b32 s5, exec_lo
	v_cmpx_lt_u32_e32 3, v29
	s_xor_b32 s8, exec_lo, s5
	s_cbranch_execnz .LBB2_538
; %bb.526:                              ;   in Loop: Header=BB2_214 Depth=2
	s_andn2_saveexec_b32 s5, s8
	s_cbranch_execnz .LBB2_557
.LBB2_527:                              ;   in Loop: Header=BB2_214 Depth=2
	s_or_b32 exec_lo, exec_lo, s5
	v_mov_b32_e32 v2, 0x58
	s_and_saveexec_b32 s5, s4
	s_cbranch_execz .LBB2_529
.LBB2_528:                              ;   in Loop: Header=BB2_214 Depth=2
	s_waitcnt vmcnt(0)
	v_mov_b32_e32 v2, v1
	global_store_byte v[25:26], v1, off offset:48
.LBB2_529:                              ;   in Loop: Header=BB2_214 Depth=2
	s_or_b32 exec_lo, exec_lo, s5
.LBB2_530:                              ;   in Loop: Header=BB2_214 Depth=2
	s_or_b32 exec_lo, exec_lo, s7
	s_waitcnt vmcnt(0)
	v_cmp_eq_u16_sdwa s4, v0, v2 src0_sel:BYTE_0 src1_sel:BYTE_0
	v_cmp_ne_u16_sdwa s6, v0, v2 src0_sel:BYTE_0 src1_sel:BYTE_0
	v_mov_b32_e32 v0, 16
	s_and_saveexec_b32 s5, s6
	s_cbranch_execz .LBB2_536
; %bb.531:                              ;   in Loop: Header=BB2_214 Depth=2
	buffer_load_ubyte v0, off, s[0:3], 0 offset:32
	s_waitcnt vmcnt(0)
	v_cmp_eq_u16_sdwa s6, v0, v2 src0_sel:DWORD src1_sel:BYTE_0
	v_cmp_ne_u16_sdwa s8, v0, v2 src0_sel:DWORD src1_sel:BYTE_0
	v_mov_b32_e32 v0, s51
	s_and_saveexec_b32 s7, s8
	s_cbranch_execz .LBB2_535
; %bb.532:                              ;   in Loop: Header=BB2_214 Depth=2
	buffer_load_ubyte v0, off, s[0:3], 0 offset:48
	s_waitcnt vmcnt(0)
	v_cmp_eq_u16_sdwa s8, v0, v2 src0_sel:DWORD src1_sel:BYTE_0
	v_cmp_ne_u16_sdwa s10, v0, v2 src0_sel:DWORD src1_sel:BYTE_0
	v_mov_b32_e32 v0, s58
	s_and_saveexec_b32 s9, s10
	s_cbranch_execz .LBB2_534
; %bb.533:                              ;   in Loop: Header=BB2_214 Depth=2
	buffer_load_ubyte v0, off, s[0:3], 0 offset:64
	s_andn2_b32 s8, s8, exec_lo
	s_waitcnt vmcnt(0)
	v_cmp_eq_u16_sdwa s10, v0, v2 src0_sel:DWORD src1_sel:BYTE_0
	v_mov_b32_e32 v0, s59
	s_and_b32 s10, s10, exec_lo
	s_or_b32 s8, s8, s10
.LBB2_534:                              ;   in Loop: Header=BB2_214 Depth=2
	s_or_b32 exec_lo, exec_lo, s9
	s_andn2_b32 s6, s6, exec_lo
	s_and_b32 s8, s8, exec_lo
	s_or_b32 s6, s6, s8
.LBB2_535:                              ;   in Loop: Header=BB2_214 Depth=2
	s_or_b32 exec_lo, exec_lo, s7
	s_andn2_b32 s4, s4, exec_lo
	s_and_b32 s6, s6, exec_lo
	s_or_b32 s4, s4, s6
.LBB2_536:                              ;   in Loop: Header=BB2_214 Depth=2
	s_or_b32 exec_lo, exec_lo, s5
	s_and_b32 exec_lo, exec_lo, s4
	s_cbranch_execz .LBB2_213
; %bb.537:                              ;   in Loop: Header=BB2_214 Depth=2
	buffer_load_dword v0, v0, s[0:3], 0 offen offset:8
	s_waitcnt vmcnt(0)
	global_store_dword v[25:26], v0, off offset:52
	s_branch .LBB2_213
.LBB2_538:                              ;   in Loop: Header=BB2_214 Depth=2
                                        ; implicit-def: $vgpr1
	s_mov_b32 s5, exec_lo
	v_cmpx_lt_u32_e32 5, v29
	s_xor_b32 s9, exec_lo, s5
	s_cbranch_execz .LBB2_554
; %bb.539:                              ;   in Loop: Header=BB2_214 Depth=2
                                        ; implicit-def: $vgpr1
	s_mov_b32 s5, exec_lo
	v_cmpx_ne_u32_e32 6, v29
	s_xor_b32 s10, exec_lo, s5
	s_cbranch_execz .LBB2_551
; %bb.540:                              ;   in Loop: Header=BB2_214 Depth=2
	s_waitcnt vmcnt(0)
	v_mov_b32_e32 v1, v0
	s_mov_b32 s11, exec_lo
	v_cmp_gt_i32_e32 vcc_lo, 7, v28
	v_cmpx_lt_i32_e32 6, v28
	s_cbranch_execz .LBB2_550
; %bb.541:                              ;   in Loop: Header=BB2_214 Depth=2
	buffer_load_dword v1, off, s[0:3], 0 offset:60
	s_waitcnt vmcnt(0)
	v_cmp_eq_u32_e64 s4, 7, v1
	v_cmp_ne_u32_e64 s5, 7, v1
	v_mov_b32_e32 v1, 0x46
	s_and_saveexec_b32 s12, s5
	s_cbranch_execz .LBB2_549
; %bb.542:                              ;   in Loop: Header=BB2_214 Depth=2
	s_clause 0x1
	buffer_load_dword v2, off, s[0:3], 0 offset:24
	buffer_load_dword v3, off, s[0:3], 0 offset:40
	v_mov_b32_e32 v1, 0x46
	s_mov_b32 s13, exec_lo
	s_waitcnt vmcnt(0)
	v_cmp_eq_u32_e64 s5, v2, v3
	v_cmpx_ne_u32_e64 v2, v3
	s_cbranch_execz .LBB2_548
; %bb.543:                              ;   in Loop: Header=BB2_214 Depth=2
	v_mov_b32_e32 v1, v0
	s_mov_b32 s15, -1
	s_mov_b32 s14, exec_lo
	v_cmpx_le_u32_e64 v2, v3
	s_cbranch_execz .LBB2_547
; %bb.544:                              ;   in Loop: Header=BB2_214 Depth=2
	v_cmp_gt_u32_e64 s6, v3, v2
	v_mov_b32_e32 v1, v0
	s_mov_b32 s15, 0
	s_and_saveexec_b32 s16, s6
	s_xor_b32 s6, exec_lo, s16
	s_cbranch_execz .LBB2_546
; %bb.545:                              ;   in Loop: Header=BB2_214 Depth=2
	buffer_load_ubyte v1, off, s[0:3], 0 offset:32
	s_mov_b32 s15, exec_lo
.LBB2_546:                              ;   in Loop: Header=BB2_214 Depth=2
	s_or_b32 exec_lo, exec_lo, s6
	s_orn2_b32 s15, s15, exec_lo
.LBB2_547:                              ;   in Loop: Header=BB2_214 Depth=2
	s_or_b32 exec_lo, exec_lo, s14
	s_andn2_b32 s5, s5, exec_lo
	s_and_b32 s6, s15, exec_lo
	s_or_b32 s5, s5, s6
.LBB2_548:                              ;   in Loop: Header=BB2_214 Depth=2
	s_or_b32 exec_lo, exec_lo, s13
	s_andn2_b32 s4, s4, exec_lo
	s_and_b32 s5, s5, exec_lo
	s_or_b32 s4, s4, s5
.LBB2_549:                              ;   in Loop: Header=BB2_214 Depth=2
	s_or_b32 exec_lo, exec_lo, s12
	s_andn2_b32 s5, vcc_lo, exec_lo
	s_and_b32 s4, s4, exec_lo
	s_or_b32 vcc_lo, s5, s4
.LBB2_550:                              ;   in Loop: Header=BB2_214 Depth=2
	s_or_b32 exec_lo, exec_lo, s11
	s_and_b32 s4, vcc_lo, exec_lo
                                        ; implicit-def: $vgpr28
.LBB2_551:                              ;   in Loop: Header=BB2_214 Depth=2
	s_andn2_saveexec_b32 s5, s10
	s_cbranch_execz .LBB2_553
; %bb.552:                              ;   in Loop: Header=BB2_214 Depth=2
	v_cmp_gt_i32_e32 vcc_lo, 4, v28
	s_waitcnt vmcnt(0)
	v_mov_b32_e32 v1, v0
	s_andn2_b32 s4, s4, exec_lo
	s_and_b32 s6, vcc_lo, exec_lo
	s_or_b32 s4, s4, s6
.LBB2_553:                              ;   in Loop: Header=BB2_214 Depth=2
	s_or_b32 exec_lo, exec_lo, s5
	s_and_b32 s4, s4, exec_lo
                                        ; implicit-def: $vgpr28
.LBB2_554:                              ;   in Loop: Header=BB2_214 Depth=2
	s_andn2_saveexec_b32 s5, s9
	s_cbranch_execz .LBB2_556
; %bb.555:                              ;   in Loop: Header=BB2_214 Depth=2
	v_cmp_gt_i32_e32 vcc_lo, 3, v28
	s_waitcnt vmcnt(0)
	v_mov_b32_e32 v1, v0
	s_andn2_b32 s4, s4, exec_lo
	s_and_b32 s6, vcc_lo, exec_lo
	s_or_b32 s4, s4, s6
.LBB2_556:                              ;   in Loop: Header=BB2_214 Depth=2
	s_or_b32 exec_lo, exec_lo, s5
	s_and_b32 s4, s4, exec_lo
                                        ; implicit-def: $vgpr28
	s_andn2_saveexec_b32 s5, s8
	s_cbranch_execz .LBB2_527
.LBB2_557:                              ;   in Loop: Header=BB2_214 Depth=2
	v_cmp_eq_u32_e32 vcc_lo, 0, v28
	s_waitcnt vmcnt(0)
	v_mov_b32_e32 v1, v0
	s_andn2_b32 s4, s4, exec_lo
	s_and_b32 s6, vcc_lo, exec_lo
	s_or_b32 s4, s4, s6
	s_or_b32 exec_lo, exec_lo, s5
	v_mov_b32_e32 v2, 0x58
	s_and_saveexec_b32 s5, s4
	s_cbranch_execnz .LBB2_528
	s_branch .LBB2_529
.LBB2_558:                              ;   in Loop: Header=BB2_13 Depth=1
	s_or_b32 exec_lo, exec_lo, s18
	s_and_saveexec_b32 s4, s39
	s_cbranch_execz .LBB2_561
; %bb.559:                              ;   in Loop: Header=BB2_13 Depth=1
	v_mov_b32_e32 v0, v67
	v_or_b32_e32 v43, 64, v67
	v_mov_b32_e32 v1, v68
	s_mov_b32 s5, 0
.LBB2_560:                              ;   Parent Loop BB2_13 Depth=1
                                        ; =>  This Inner Loop Header: Depth=2
	v_mad_u64_u32 v[2:3], null, v0, 24, v[59:60]
	v_cmp_le_u64_e32 vcc_lo, s[54:55], v[43:44]
	s_or_b32 s5, vcc_lo, s5
	v_mov_b32_e32 v0, v3
	v_mad_u64_u32 v[5:6], null, v1, 24, v[0:1]
	v_mov_b32_e32 v0, v43
	v_mov_b32_e32 v1, v44
	v_add_nc_u32_e32 v43, 64, v43
	v_mov_b32_e32 v3, v5
	global_store_dword v[2:3], v82, off offset:8
	s_andn2_b32 exec_lo, exec_lo, s5
	s_cbranch_execnz .LBB2_560
.LBB2_561:                              ;   in Loop: Header=BB2_13 Depth=1
	s_or_b32 exec_lo, exec_lo, s4
	s_mov_b32 s8, -1
	s_mov_b32 s4, -1
	s_and_saveexec_b32 s9, s38
	s_cbranch_execz .LBB2_702
; %bb.562:                              ;   in Loop: Header=BB2_13 Depth=1
	v_sub_nc_u32_e32 v0, v77, v4
	v_max_i32_e32 v2, 1, v4
	s_mov_b64 s[6:7], 0
	s_mov_b32 s5, 0
	v_ashrrev_i32_e32 v1, 31, v0
	v_add_co_u32 v0, vcc_lo, v63, v0
	v_add_co_ci_u32_e64 v1, null, v64, v1, vcc_lo
	.p2align	6
.LBB2_563:                              ;   Parent Loop BB2_13 Depth=1
                                        ; =>  This Inner Loop Header: Depth=2
	v_add_co_u32 v5, vcc_lo, v0, s6
	v_add_co_ci_u32_e64 v6, null, s7, v1, vcc_lo
	global_load_ubyte v3, v[5:6], off
	v_add_co_u32 v5, vcc_lo, v61, s6
	s_add_u32 s6, s6, 1
	v_add_co_ci_u32_e64 v6, null, s7, v62, vcc_lo
	v_cmp_eq_u32_e64 s4, s6, v2
	s_addc_u32 s7, s7, 0
	s_or_b32 s5, s4, s5
	s_waitcnt vmcnt(0)
	global_store_byte v[5:6], v3, off
	s_andn2_b32 exec_lo, exec_lo, s5
	s_cbranch_execnz .LBB2_563
; %bb.564:                              ;   in Loop: Header=BB2_13 Depth=1
	s_or_b32 exec_lo, exec_lo, s5
	s_andn2_b32 vcc_lo, exec_lo, s61
	s_cbranch_vccnz .LBB2_688
; %bb.565:                              ;   in Loop: Header=BB2_13 Depth=1
	v_mov_b32_e32 v2, v61
	v_xor_b32_e32 v8, 0x3fb0bb5f, v4
	v_add_nc_u32_e32 v9, 4, v4
	v_mov_b32_e32 v10, 0x58
	v_mov_b32_e32 v7, 0
	;; [unrolled: 1-line block ×3, first 2 shown]
	s_mov_b32 s10, 0
	s_mov_b32 s11, 0
	s_branch .LBB2_570
.LBB2_566:                              ;   in Loop: Header=BB2_570 Depth=2
	s_or_b32 exec_lo, exec_lo, s14
	s_and_b32 s4, vcc_lo, s4
	s_and_b32 s4, s4, exec_lo
.LBB2_567:                              ;   in Loop: Header=BB2_570 Depth=2
	s_or_b32 exec_lo, exec_lo, s12
	s_and_b32 s4, s4, exec_lo
.LBB2_568:                              ;   in Loop: Header=BB2_570 Depth=2
	s_or_b32 exec_lo, exec_lo, s7
	s_and_b32 s4, s4, exec_lo
.LBB2_569:                              ;   in Loop: Header=BB2_570 Depth=2
	s_or_b32 exec_lo, exec_lo, s6
	s_add_i32 s11, s11, 1
	v_mov_b32_e32 v10, v12
	s_cmp_eq_u32 s11, s54
	s_cselect_b32 s5, -1, 0
	s_xor_b32 s4, s4, -1
	s_or_b32 s4, s4, s5
	s_and_b32 s4, exec_lo, s4
	s_or_b32 s10, s4, s10
	s_andn2_b32 exec_lo, exec_lo, s10
	s_cbranch_execz .LBB2_687
.LBB2_570:                              ;   Parent Loop BB2_13 Depth=1
                                        ; =>  This Loop Header: Depth=2
                                        ;       Child Loop BB2_576 Depth 3
                                        ;       Child Loop BB2_595 Depth 3
	;; [unrolled: 1-line block ×3, first 2 shown]
                                        ;         Child Loop BB2_606 Depth 4
                                        ;       Child Loop BB2_620 Depth 3
                                        ;       Child Loop BB2_639 Depth 3
	;; [unrolled: 1-line block ×3, first 2 shown]
                                        ;         Child Loop BB2_650 Depth 4
	v_and_b32_e32 v11, 3, v2
                                        ; implicit-def: $vgpr15
	v_cmp_ne_u32_e32 vcc_lo, 0, v11
	s_and_saveexec_b32 s4, vcc_lo
	s_xor_b32 s6, exec_lo, s4
	s_cbranch_execz .LBB2_593
; %bb.571:                              ;   in Loop: Header=BB2_570 Depth=2
	v_mov_b32_e32 v0, 0
	s_mov_b32 s5, exec_lo
	v_cmpx_gt_i32_e32 3, v11
	s_cbranch_execz .LBB2_575
; %bb.572:                              ;   in Loop: Header=BB2_570 Depth=2
	v_mov_b32_e32 v0, 0
	s_mov_b32 s7, exec_lo
	v_cmpx_ne_u32_e32 2, v11
	s_cbranch_execz .LBB2_574
; %bb.573:                              ;   in Loop: Header=BB2_570 Depth=2
	global_load_ubyte v0, v[2:3], off offset:2
	s_waitcnt vmcnt(0)
	v_lshlrev_b32_e32 v0, 16, v0
.LBB2_574:                              ;   in Loop: Header=BB2_570 Depth=2
	s_or_b32 exec_lo, exec_lo, s7
	global_load_ubyte v1, v[2:3], off offset:1
	s_waitcnt vmcnt(0)
	v_lshl_or_b32 v0, v1, 8, v0
.LBB2_575:                              ;   in Loop: Header=BB2_570 Depth=2
	s_or_b32 exec_lo, exec_lo, s5
	global_load_ubyte v1, v[2:3], off
	v_sub_nc_u32_e32 v5, 4, v11
	v_lshlrev_b32_e32 v16, 3, v11
	v_add_nc_u32_e32 v14, v4, v11
	v_mov_b32_e32 v13, v8
	s_mov_b32 s7, 0
	v_lshlrev_b32_e32 v17, 3, v5
	s_waitcnt vmcnt(0)
	v_or_b32_e32 v6, v0, v1
	v_add_co_u32 v0, s4, v2, v5
	v_add_co_ci_u32_e64 v1, null, 0, v3, s4
	v_lshlrev_b32_e32 v5, v16, v6
	.p2align	6
.LBB2_576:                              ;   Parent Loop BB2_13 Depth=1
                                        ;     Parent Loop BB2_570 Depth=2
                                        ; =>    This Inner Loop Header: Depth=3
	global_load_dword v12, v[0:1], off
	v_lshrrev_b32_e32 v5, v16, v5
	v_mul_lo_u32 v6, 0x5bd1e995, v13
	v_add_nc_u32_e32 v14, -4, v14
	v_add_co_u32 v0, s4, v0, 4
	v_add_co_ci_u32_e64 v1, null, 0, v1, s4
	v_cmp_gt_u32_e64 s5, 8, v14
	s_or_b32 s7, s5, s7
	s_waitcnt vmcnt(0)
	v_lshl_or_b32 v5, v12, v17, v5
	v_mul_lo_u32 v5, 0x5bd1e995, v5
	v_xor_b32_sdwa v5, v5, v5 dst_sel:DWORD dst_unused:UNUSED_PAD src0_sel:BYTE_3 src1_sel:DWORD
	v_mul_lo_u32 v13, 0x5bd1e995, v5
	v_mov_b32_e32 v5, v12
	v_xor_b32_e32 v13, v13, v6
	s_andn2_b32 exec_lo, exec_lo, s7
	s_cbranch_execnz .LBB2_576
; %bb.577:                              ;   in Loop: Header=BB2_570 Depth=2
	s_or_b32 exec_lo, exec_lo, s7
	v_add_co_u32 v5, s4, v0, -4
	v_add_nc_u32_e32 v18, -4, v14
	v_add_co_ci_u32_e64 v6, null, -1, v1, s4
	s_mov_b32 s5, exec_lo
                                        ; implicit-def: $vgpr15
	v_cmpx_ge_u32_e64 v18, v11
	s_xor_b32 s5, exec_lo, s5
	s_cbranch_execz .LBB2_587
; %bb.578:                              ;   in Loop: Header=BB2_570 Depth=2
	v_cmp_lt_i32_e64 s4, 2, v11
	s_mov_b32 s7, 0
                                        ; implicit-def: $vgpr15
	s_and_saveexec_b32 s12, s4
	s_xor_b32 s4, exec_lo, s12
	s_cbranch_execnz .LBB2_665
; %bb.579:                              ;   in Loop: Header=BB2_570 Depth=2
	s_andn2_saveexec_b32 s12, s4
	s_cbranch_execnz .LBB2_666
.LBB2_580:                              ;   in Loop: Header=BB2_570 Depth=2
	s_or_b32 exec_lo, exec_lo, s12
	v_mov_b32_e32 v19, 0
	s_and_saveexec_b32 s4, s7
	s_cbranch_execz .LBB2_582
.LBB2_581:                              ;   in Loop: Header=BB2_570 Depth=2
	global_load_ubyte v19, v[5:6], off offset:5
	s_waitcnt vmcnt(0)
	v_lshl_or_b32 v19, v19, 8, v15
.LBB2_582:                              ;   in Loop: Header=BB2_570 Depth=2
	s_or_b32 exec_lo, exec_lo, s4
	global_load_ubyte v15, v[0:1], off
	v_lshrrev_b32_e32 v16, v16, v12
	v_add_co_u32 v5, s4, v5, v11
	v_add_co_ci_u32_e64 v6, null, 0, v6, s4
	s_mov_b32 s7, 0
	s_waitcnt vmcnt(0)
	v_or_b32_e32 v15, v19, v15
	v_lshl_or_b32 v15, v15, v17, v16
	v_mul_lo_u32 v16, 0x5bd1e995, v13
	v_sub_nc_u32_e32 v17, v18, v11
	v_mul_lo_u32 v15, 0x5bd1e995, v15
	v_cmp_lt_i32_e64 s4, 1, v17
	v_xor_b32_sdwa v15, v15, v15 dst_sel:DWORD dst_unused:UNUSED_PAD src0_sel:BYTE_3 src1_sel:DWORD
	v_mul_lo_u32 v15, 0x5bd1e995, v15
	v_xor_b32_e32 v15, v15, v16
                                        ; implicit-def: $vgpr16
	s_and_saveexec_b32 s12, s4
	s_xor_b32 s4, exec_lo, s12
	s_cbranch_execnz .LBB2_667
; %bb.583:                              ;   in Loop: Header=BB2_570 Depth=2
	s_andn2_saveexec_b32 s12, s4
	s_cbranch_execnz .LBB2_668
.LBB2_584:                              ;   in Loop: Header=BB2_570 Depth=2
	s_or_b32 exec_lo, exec_lo, s12
	s_and_saveexec_b32 s4, s7
	s_cbranch_execz .LBB2_586
.LBB2_585:                              ;   in Loop: Header=BB2_570 Depth=2
	global_load_ubyte v5, v[5:6], off offset:4
	s_waitcnt vmcnt(0)
	v_xor_b32_e32 v5, v16, v5
	v_mul_lo_u32 v15, 0x5bd1e995, v5
.LBB2_586:                              ;   in Loop: Header=BB2_570 Depth=2
	s_or_b32 exec_lo, exec_lo, s4
                                        ; implicit-def: $vgpr16
                                        ; implicit-def: $vgpr17
                                        ; implicit-def: $vgpr5_vgpr6
.LBB2_587:                              ;   in Loop: Header=BB2_570 Depth=2
	s_andn2_saveexec_b32 s5, s5
	s_cbranch_execz .LBB2_656
; %bb.588:                              ;   in Loop: Header=BB2_570 Depth=2
	v_cmp_lt_i32_e64 s4, 5, v14
	s_mov_b32 s7, 0
                                        ; implicit-def: $vgpr15
	s_and_saveexec_b32 s12, s4
	s_xor_b32 s4, exec_lo, s12
	s_cbranch_execnz .LBB2_669
; %bb.589:                              ;   in Loop: Header=BB2_570 Depth=2
	s_andn2_saveexec_b32 s12, s4
	s_cbranch_execnz .LBB2_670
.LBB2_590:                              ;   in Loop: Header=BB2_570 Depth=2
	s_or_b32 exec_lo, exec_lo, s12
	v_mov_b32_e32 v5, 0
	s_and_saveexec_b32 s4, s7
	s_cbranch_execz .LBB2_592
.LBB2_591:                              ;   in Loop: Header=BB2_570 Depth=2
	global_load_ubyte v0, v[0:1], off
	s_waitcnt vmcnt(0)
	v_or_b32_e32 v5, v15, v0
.LBB2_592:                              ;   in Loop: Header=BB2_570 Depth=2
	s_or_b32 exec_lo, exec_lo, s4
	v_lshrrev_b32_e32 v0, v16, v12
	v_lshl_or_b32 v0, v5, v17, v0
	v_xor_b32_e32 v0, v0, v13
	v_mul_lo_u32 v15, 0x5bd1e995, v0
	s_or_b32 exec_lo, exec_lo, s5
.LBB2_593:                              ;   in Loop: Header=BB2_570 Depth=2
	s_andn2_saveexec_b32 s6, s6
	s_cbranch_execz .LBB2_601
.LBB2_594:                              ;   in Loop: Header=BB2_570 Depth=2
	v_mov_b32_e32 v0, v2
	v_mov_b32_e32 v5, v9
	;; [unrolled: 1-line block ×4, first 2 shown]
	s_mov_b32 s7, 0
	.p2align	6
.LBB2_595:                              ;   Parent Loop BB2_13 Depth=1
                                        ;     Parent Loop BB2_570 Depth=2
                                        ; =>    This Inner Loop Header: Depth=3
	global_load_dword v6, v[0:1], off
	v_mul_lo_u32 v12, 0x5bd1e995, v15
	v_add_nc_u32_e32 v5, -4, v5
	v_add_co_u32 v0, s4, v0, 4
	v_add_co_ci_u32_e64 v1, null, 0, v1, s4
	v_cmp_gt_u32_e64 s5, 8, v5
	s_or_b32 s7, s5, s7
	s_waitcnt vmcnt(0)
	v_mul_lo_u32 v6, 0x5bd1e995, v6
	v_xor_b32_sdwa v6, v6, v6 dst_sel:DWORD dst_unused:UNUSED_PAD src0_sel:BYTE_3 src1_sel:DWORD
	v_mul_lo_u32 v6, 0x5bd1e995, v6
	v_xor_b32_e32 v15, v6, v12
	s_andn2_b32 exec_lo, exec_lo, s7
	s_cbranch_execnz .LBB2_595
; %bb.596:                              ;   in Loop: Header=BB2_570 Depth=2
	s_or_b32 exec_lo, exec_lo, s7
	s_mov_b32 s5, 0
	s_mov_b32 s7, exec_lo
                                        ; implicit-def: $vgpr6
	v_cmpx_lt_i32_e32 5, v5
	s_xor_b32 s7, exec_lo, s7
	s_cbranch_execnz .LBB2_657
; %bb.597:                              ;   in Loop: Header=BB2_570 Depth=2
	s_andn2_saveexec_b32 s7, s7
	s_cbranch_execnz .LBB2_660
.LBB2_598:                              ;   in Loop: Header=BB2_570 Depth=2
	s_or_b32 exec_lo, exec_lo, s7
	s_and_saveexec_b32 s4, s5
	s_cbranch_execz .LBB2_600
.LBB2_599:                              ;   in Loop: Header=BB2_570 Depth=2
	global_load_ubyte v0, v[0:1], off
	s_waitcnt vmcnt(0)
	v_xor_b32_e32 v0, v6, v0
	v_mul_lo_u32 v15, 0x5bd1e995, v0
.LBB2_600:                              ;   in Loop: Header=BB2_570 Depth=2
	s_or_b32 exec_lo, exec_lo, s4
.LBB2_601:                              ;   in Loop: Header=BB2_570 Depth=2
	s_or_b32 exec_lo, exec_lo, s6
	v_lshrrev_b32_e32 v0, 13, v15
	s_mov_b32 s7, -1
	s_mov_b32 s5, exec_lo
	v_xor_b32_e32 v0, v0, v15
	v_mul_lo_u32 v0, 0x5bd1e995, v0
	v_lshrrev_b32_e32 v1, 15, v0
	v_xor_b32_e32 v0, v1, v0
	v_mul_hi_u32 v1, v0, v80
	v_mul_lo_u32 v1, v1, s54
	v_sub_nc_u32_e32 v0, v0, v1
	v_subrev_nc_u32_e32 v1, s54, v0
	v_cmp_le_u32_e64 s4, s54, v0
	v_cndmask_b32_e64 v0, v0, v1, s4
	v_subrev_nc_u32_e32 v1, s54, v0
	v_cmp_le_u32_e64 s4, s54, v0
	v_cndmask_b32_e64 v5, v0, v1, s4
	v_mad_u64_u32 v[0:1], null, v5, 24, v[59:60]
	global_load_dword v6, v[0:1], off offset:8
	s_waitcnt vmcnt(0)
	v_cmpx_ne_u32_e32 -1, v6
	s_cbranch_execz .LBB2_613
; %bb.602:                              ;   in Loop: Header=BB2_570 Depth=2
	s_mov_b32 s12, 0
                                        ; implicit-def: $sgpr13
	s_branch .LBB2_604
.LBB2_603:                              ;   in Loop: Header=BB2_604 Depth=3
	s_or_b32 exec_lo, exec_lo, s14
	s_xor_b32 s4, s7, -1
	s_and_b32 s6, exec_lo, s6
	s_or_b32 s12, s6, s12
	s_andn2_b32 s6, s13, exec_lo
	s_and_b32 s4, s4, exec_lo
	s_or_b32 s13, s6, s4
	s_andn2_b32 exec_lo, exec_lo, s12
	s_cbranch_execz .LBB2_612
.LBB2_604:                              ;   Parent Loop BB2_13 Depth=1
                                        ;     Parent Loop BB2_570 Depth=2
                                        ; =>    This Loop Header: Depth=3
                                        ;         Child Loop BB2_606 Depth 4
	global_load_dwordx2 v[0:1], v[0:1], off
	s_mov_b64 s[6:7], 0
	s_mov_b32 s15, 0
                                        ; implicit-def: $sgpr14
                                        ; implicit-def: $sgpr17
                                        ; implicit-def: $sgpr16
	s_inst_prefetch 0x1
	s_branch .LBB2_606
	.p2align	6
.LBB2_605:                              ;   in Loop: Header=BB2_606 Depth=4
	s_or_b32 exec_lo, exec_lo, s18
	s_xor_b32 s4, s16, -1
	s_and_b32 s18, exec_lo, s17
	s_or_b32 s15, s18, s15
	s_andn2_b32 s14, s14, exec_lo
	s_and_b32 s4, s4, exec_lo
	s_or_b32 s14, s14, s4
	s_andn2_b32 exec_lo, exec_lo, s15
	s_cbranch_execz .LBB2_608
.LBB2_606:                              ;   Parent Loop BB2_13 Depth=1
                                        ;     Parent Loop BB2_570 Depth=2
                                        ;       Parent Loop BB2_604 Depth=3
                                        ; =>      This Inner Loop Header: Depth=4
	s_waitcnt vmcnt(0)
	v_add_co_u32 v12, s4, v0, s6
	v_add_co_ci_u32_e64 v13, null, s7, v1, s4
	v_add_co_u32 v14, s4, v2, s6
	v_add_co_ci_u32_e64 v15, null, s7, v3, s4
	flat_load_ubyte v12, v[12:13]
	global_load_ubyte v13, v[14:15], off
	s_or_b32 s16, s16, exec_lo
	s_or_b32 s17, s17, exec_lo
	s_mov_b32 s18, exec_lo
	s_waitcnt vmcnt(0) lgkmcnt(0)
	v_cmpx_eq_u16_e64 v12, v13
	s_cbranch_execz .LBB2_605
; %bb.607:                              ;   in Loop: Header=BB2_606 Depth=4
	s_add_u32 s6, s6, 1
	s_addc_u32 s7, s7, 0
	v_cmp_eq_u32_e64 s4, s6, v4
	s_andn2_b32 s17, s17, exec_lo
	s_andn2_b32 s16, s16, exec_lo
	s_and_b32 s4, s4, exec_lo
	s_or_b32 s17, s17, s4
	s_branch .LBB2_605
.LBB2_608:                              ;   in Loop: Header=BB2_604 Depth=3
	s_inst_prefetch 0x2
	s_or_b32 exec_lo, exec_lo, s15
	s_mov_b32 s6, -1
	s_mov_b32 s4, -1
	s_and_saveexec_b32 s7, s14
	s_xor_b32 s7, exec_lo, s7
; %bb.609:                              ;   in Loop: Header=BB2_604 Depth=3
	v_cmp_ne_u32_e64 s4, v6, v4
	s_orn2_b32 s4, s4, exec_lo
; %bb.610:                              ;   in Loop: Header=BB2_604 Depth=3
	s_or_b32 exec_lo, exec_lo, s7
	s_mov_b32 s7, -1
                                        ; implicit-def: $vgpr0_vgpr1
                                        ; implicit-def: $vgpr6
	s_and_saveexec_b32 s14, s4
	s_cbranch_execz .LBB2_603
; %bb.611:                              ;   in Loop: Header=BB2_604 Depth=3
	v_add_nc_u32_e32 v0, 1, v5
	s_xor_b32 s7, exec_lo, -1
	v_cmp_ne_u32_e64 s4, s54, v0
	v_cndmask_b32_e64 v5, 0, v0, s4
	v_mad_u64_u32 v[0:1], null, v5, 24, v[59:60]
	global_load_dword v6, v[0:1], off offset:8
	s_waitcnt vmcnt(0)
	v_cmp_eq_u32_e64 s4, -1, v6
	s_orn2_b32 s6, s4, exec_lo
	s_branch .LBB2_603
.LBB2_612:                              ;   in Loop: Header=BB2_570 Depth=2
	s_or_b32 exec_lo, exec_lo, s12
	s_orn2_b32 s7, s13, exec_lo
.LBB2_613:                              ;   in Loop: Header=BB2_570 Depth=2
	s_or_b32 exec_lo, exec_lo, s5
	v_mov_b32_e32 v12, 0x52
	s_mov_b32 s4, 0
	s_and_saveexec_b32 s6, s7
	s_cbranch_execz .LBB2_569
; %bb.614:                              ;   in Loop: Header=BB2_570 Depth=2
	global_store_dwordx3 v[0:1], v[2:4], off
	global_store_byte v[0:1], v46, off offset:16
                                        ; implicit-def: $vgpr15
	s_and_saveexec_b32 s4, vcc_lo
	s_xor_b32 s5, exec_lo, s4
	s_cbranch_execz .LBB2_637
; %bb.615:                              ;   in Loop: Header=BB2_570 Depth=2
	v_mov_b32_e32 v0, 0
	s_mov_b32 s4, exec_lo
	v_cmpx_gt_i32_e32 3, v11
	s_cbranch_execz .LBB2_619
; %bb.616:                              ;   in Loop: Header=BB2_570 Depth=2
	v_mov_b32_e32 v0, 0
	s_mov_b32 s7, exec_lo
	v_cmpx_ne_u32_e32 2, v11
	s_cbranch_execz .LBB2_618
; %bb.617:                              ;   in Loop: Header=BB2_570 Depth=2
	global_load_ubyte v0, v[2:3], off offset:2
	s_waitcnt vmcnt(0)
	v_lshlrev_b32_e32 v0, 16, v0
.LBB2_618:                              ;   in Loop: Header=BB2_570 Depth=2
	s_or_b32 exec_lo, exec_lo, s7
	global_load_ubyte v1, v[2:3], off offset:1
	s_waitcnt vmcnt(0)
	v_lshl_or_b32 v0, v1, 8, v0
.LBB2_619:                              ;   in Loop: Header=BB2_570 Depth=2
	s_or_b32 exec_lo, exec_lo, s4
	global_load_ubyte v1, v[2:3], off
	v_sub_nc_u32_e32 v5, 4, v11
	v_lshlrev_b32_e32 v16, 3, v11
	v_add_nc_u32_e32 v14, v4, v11
	v_mov_b32_e32 v13, v8
	s_mov_b32 s7, 0
	v_lshlrev_b32_e32 v17, 3, v5
	s_waitcnt vmcnt(0)
	v_or_b32_e32 v6, v0, v1
	v_add_co_u32 v0, vcc_lo, v2, v5
	v_add_co_ci_u32_e64 v1, null, 0, v3, vcc_lo
	v_lshlrev_b32_e32 v5, v16, v6
	.p2align	6
.LBB2_620:                              ;   Parent Loop BB2_13 Depth=1
                                        ;     Parent Loop BB2_570 Depth=2
                                        ; =>    This Inner Loop Header: Depth=3
	global_load_dword v12, v[0:1], off
	v_lshrrev_b32_e32 v5, v16, v5
	v_mul_lo_u32 v6, 0x5bd1e995, v13
	v_add_nc_u32_e32 v14, -4, v14
	v_add_co_u32 v0, vcc_lo, v0, 4
	v_add_co_ci_u32_e64 v1, null, 0, v1, vcc_lo
	v_cmp_gt_u32_e64 s4, 8, v14
	s_or_b32 s7, s4, s7
	s_waitcnt vmcnt(0)
	v_lshl_or_b32 v5, v12, v17, v5
	v_mul_lo_u32 v5, 0x5bd1e995, v5
	v_xor_b32_sdwa v5, v5, v5 dst_sel:DWORD dst_unused:UNUSED_PAD src0_sel:BYTE_3 src1_sel:DWORD
	v_mul_lo_u32 v13, 0x5bd1e995, v5
	v_mov_b32_e32 v5, v12
	v_xor_b32_e32 v13, v13, v6
	s_andn2_b32 exec_lo, exec_lo, s7
	s_cbranch_execnz .LBB2_620
; %bb.621:                              ;   in Loop: Header=BB2_570 Depth=2
	s_or_b32 exec_lo, exec_lo, s7
	v_add_co_u32 v5, vcc_lo, v0, -4
	v_add_nc_u32_e32 v18, -4, v14
	v_add_co_ci_u32_e64 v6, null, -1, v1, vcc_lo
	s_mov_b32 s4, exec_lo
                                        ; implicit-def: $vgpr15
	v_cmpx_ge_u32_e64 v18, v11
	s_xor_b32 s4, exec_lo, s4
	s_cbranch_execz .LBB2_631
; %bb.622:                              ;   in Loop: Header=BB2_570 Depth=2
	s_mov_b32 s7, 0
	s_mov_b32 s12, exec_lo
                                        ; implicit-def: $vgpr15
	v_cmpx_lt_i32_e32 2, v11
	s_xor_b32 s12, exec_lo, s12
	s_cbranch_execnz .LBB2_676
; %bb.623:                              ;   in Loop: Header=BB2_570 Depth=2
	s_andn2_saveexec_b32 s12, s12
	s_cbranch_execnz .LBB2_677
.LBB2_624:                              ;   in Loop: Header=BB2_570 Depth=2
	s_or_b32 exec_lo, exec_lo, s12
	v_mov_b32_e32 v19, 0
	s_and_saveexec_b32 s12, s7
	s_cbranch_execz .LBB2_626
.LBB2_625:                              ;   in Loop: Header=BB2_570 Depth=2
	global_load_ubyte v19, v[5:6], off offset:5
	s_waitcnt vmcnt(0)
	v_lshl_or_b32 v19, v19, 8, v15
.LBB2_626:                              ;   in Loop: Header=BB2_570 Depth=2
	s_or_b32 exec_lo, exec_lo, s12
	global_load_ubyte v15, v[0:1], off
	v_lshrrev_b32_e32 v16, v16, v12
	v_add_co_u32 v5, vcc_lo, v5, v11
	v_add_co_ci_u32_e64 v6, null, 0, v6, vcc_lo
	s_mov_b32 s7, 0
	s_mov_b32 s12, exec_lo
	s_waitcnt vmcnt(0)
	v_or_b32_e32 v15, v19, v15
	v_lshl_or_b32 v15, v15, v17, v16
	v_mul_lo_u32 v17, 0x5bd1e995, v13
	v_sub_nc_u32_e32 v16, v18, v11
                                        ; implicit-def: $vgpr11
	v_mul_lo_u32 v15, 0x5bd1e995, v15
	v_xor_b32_sdwa v15, v15, v15 dst_sel:DWORD dst_unused:UNUSED_PAD src0_sel:BYTE_3 src1_sel:DWORD
	v_mul_lo_u32 v15, 0x5bd1e995, v15
	v_xor_b32_e32 v15, v15, v17
	v_cmpx_lt_i32_e32 1, v16
	s_xor_b32 s12, exec_lo, s12
	s_cbranch_execnz .LBB2_678
; %bb.627:                              ;   in Loop: Header=BB2_570 Depth=2
	s_andn2_saveexec_b32 s12, s12
	s_cbranch_execnz .LBB2_681
.LBB2_628:                              ;   in Loop: Header=BB2_570 Depth=2
	s_or_b32 exec_lo, exec_lo, s12
	s_and_saveexec_b32 s12, s7
	s_cbranch_execz .LBB2_630
.LBB2_629:                              ;   in Loop: Header=BB2_570 Depth=2
	global_load_ubyte v5, v[5:6], off offset:4
	s_waitcnt vmcnt(0)
	v_xor_b32_e32 v5, v11, v5
	v_mul_lo_u32 v15, 0x5bd1e995, v5
.LBB2_630:                              ;   in Loop: Header=BB2_570 Depth=2
	s_or_b32 exec_lo, exec_lo, s12
                                        ; implicit-def: $vgpr16
                                        ; implicit-def: $vgpr17
                                        ; implicit-def: $vgpr5_vgpr6
.LBB2_631:                              ;   in Loop: Header=BB2_570 Depth=2
	s_andn2_saveexec_b32 s4, s4
	s_cbranch_execz .LBB2_671
; %bb.632:                              ;   in Loop: Header=BB2_570 Depth=2
	s_mov_b32 s7, 0
	s_mov_b32 s12, exec_lo
                                        ; implicit-def: $vgpr11
	v_cmpx_lt_i32_e32 5, v14
	s_xor_b32 s12, exec_lo, s12
	s_cbranch_execnz .LBB2_682
; %bb.633:                              ;   in Loop: Header=BB2_570 Depth=2
	s_andn2_saveexec_b32 s12, s12
	s_cbranch_execnz .LBB2_683
.LBB2_634:                              ;   in Loop: Header=BB2_570 Depth=2
	s_or_b32 exec_lo, exec_lo, s12
	v_mov_b32_e32 v5, 0
	s_and_saveexec_b32 s12, s7
	s_cbranch_execz .LBB2_636
.LBB2_635:                              ;   in Loop: Header=BB2_570 Depth=2
	global_load_ubyte v0, v[0:1], off
	s_waitcnt vmcnt(0)
	v_or_b32_e32 v5, v11, v0
.LBB2_636:                              ;   in Loop: Header=BB2_570 Depth=2
	s_or_b32 exec_lo, exec_lo, s12
	v_lshrrev_b32_e32 v0, v16, v12
	v_lshl_or_b32 v0, v5, v17, v0
	v_xor_b32_e32 v0, v0, v13
	v_mul_lo_u32 v15, 0x5bd1e995, v0
	s_or_b32 exec_lo, exec_lo, s4
.LBB2_637:                              ;   in Loop: Header=BB2_570 Depth=2
	s_andn2_saveexec_b32 s5, s5
	s_cbranch_execz .LBB2_645
.LBB2_638:                              ;   in Loop: Header=BB2_570 Depth=2
	v_mov_b32_e32 v0, v2
	v_mov_b32_e32 v5, v9
	v_mov_b32_e32 v1, v3
	v_mov_b32_e32 v15, v8
	s_mov_b32 s7, 0
	.p2align	6
.LBB2_639:                              ;   Parent Loop BB2_13 Depth=1
                                        ;     Parent Loop BB2_570 Depth=2
                                        ; =>    This Inner Loop Header: Depth=3
	global_load_dword v6, v[0:1], off
	v_mul_lo_u32 v11, 0x5bd1e995, v15
	v_add_nc_u32_e32 v5, -4, v5
	v_add_co_u32 v0, vcc_lo, v0, 4
	v_add_co_ci_u32_e64 v1, null, 0, v1, vcc_lo
	v_cmp_gt_u32_e64 s4, 8, v5
	s_or_b32 s7, s4, s7
	s_waitcnt vmcnt(0)
	v_mul_lo_u32 v6, 0x5bd1e995, v6
	v_xor_b32_sdwa v6, v6, v6 dst_sel:DWORD dst_unused:UNUSED_PAD src0_sel:BYTE_3 src1_sel:DWORD
	v_mul_lo_u32 v6, 0x5bd1e995, v6
	v_xor_b32_e32 v15, v6, v11
	s_andn2_b32 exec_lo, exec_lo, s7
	s_cbranch_execnz .LBB2_639
; %bb.640:                              ;   in Loop: Header=BB2_570 Depth=2
	s_or_b32 exec_lo, exec_lo, s7
	s_mov_b32 s4, 0
	s_mov_b32 s7, exec_lo
                                        ; implicit-def: $vgpr6
	v_cmpx_lt_i32_e32 5, v5
	s_xor_b32 s7, exec_lo, s7
	s_cbranch_execnz .LBB2_672
; %bb.641:                              ;   in Loop: Header=BB2_570 Depth=2
	s_andn2_saveexec_b32 s7, s7
	s_cbranch_execnz .LBB2_675
.LBB2_642:                              ;   in Loop: Header=BB2_570 Depth=2
	s_or_b32 exec_lo, exec_lo, s7
	s_and_saveexec_b32 s7, s4
	s_cbranch_execz .LBB2_644
.LBB2_643:                              ;   in Loop: Header=BB2_570 Depth=2
	global_load_ubyte v0, v[0:1], off
	s_waitcnt vmcnt(0)
	v_xor_b32_e32 v0, v6, v0
	v_mul_lo_u32 v15, 0x5bd1e995, v0
.LBB2_644:                              ;   in Loop: Header=BB2_570 Depth=2
	s_or_b32 exec_lo, exec_lo, s7
.LBB2_645:                              ;   in Loop: Header=BB2_570 Depth=2
	s_or_b32 exec_lo, exec_lo, s5
	v_lshrrev_b32_e32 v0, 13, v15
	v_mov_b32_e32 v12, 0x58
	s_mov_b32 s4, 0
	s_mov_b32 s7, exec_lo
	v_xor_b32_e32 v0, v0, v15
	v_mul_lo_u32 v0, 0x5bd1e995, v0
	v_lshrrev_b32_e32 v1, 15, v0
	v_xor_b32_e32 v0, v1, v0
	v_mul_hi_u32 v1, v0, v81
	v_mul_lo_u32 v1, v1, v42
	v_sub_nc_u32_e32 v0, v0, v1
	v_sub_nc_u32_e32 v1, v0, v42
	v_cmp_ge_u32_e32 vcc_lo, v0, v42
	v_cndmask_b32_e32 v0, v0, v1, vcc_lo
	v_sub_nc_u32_e32 v1, v0, v42
	v_cmp_ge_u32_e32 vcc_lo, v0, v42
	v_cndmask_b32_e32 v11, v0, v1, vcc_lo
	v_mad_u64_u32 v[5:6], null, v11, 56, v[40:41]
	global_load_dword v13, v[5:6], off offset:8
	s_waitcnt vmcnt(0)
	v_cmpx_ne_u32_e32 -1, v13
	s_cbranch_execz .LBB2_568
; %bb.646:                              ;   in Loop: Header=BB2_570 Depth=2
	s_mov_b32 s13, 0
                                        ; implicit-def: $sgpr12
                                        ; implicit-def: $sgpr14
	s_branch .LBB2_648
.LBB2_647:                              ;   in Loop: Header=BB2_648 Depth=3
	s_or_b32 exec_lo, exec_lo, s5
	s_and_b32 s4, exec_lo, s4
	s_or_b32 s13, s4, s13
	s_andn2_b32 s4, s12, exec_lo
	s_and_b32 s5, s14, exec_lo
	s_or_b32 s12, s4, s5
	s_andn2_b32 exec_lo, exec_lo, s13
	s_cbranch_execz .LBB2_661
.LBB2_648:                              ;   Parent Loop BB2_13 Depth=1
                                        ;     Parent Loop BB2_570 Depth=2
                                        ; =>    This Loop Header: Depth=3
                                        ;         Child Loop BB2_650 Depth 4
	v_mov_b32_e32 v0, v5
	v_mov_b32_e32 v1, v6
	global_load_dwordx2 v[5:6], v[5:6], off
	s_mov_b64 s[4:5], 0
	s_mov_b32 s16, 0
                                        ; implicit-def: $sgpr15
                                        ; implicit-def: $sgpr18
                                        ; implicit-def: $sgpr17
	s_inst_prefetch 0x1
	s_branch .LBB2_650
	.p2align	6
.LBB2_649:                              ;   in Loop: Header=BB2_650 Depth=4
	s_or_b32 exec_lo, exec_lo, s19
	s_xor_b32 s19, s17, -1
	s_and_b32 s20, exec_lo, s18
	s_or_b32 s16, s20, s16
	s_andn2_b32 s15, s15, exec_lo
	s_and_b32 s19, s19, exec_lo
	s_or_b32 s15, s15, s19
	s_andn2_b32 exec_lo, exec_lo, s16
	s_cbranch_execz .LBB2_652
.LBB2_650:                              ;   Parent Loop BB2_13 Depth=1
                                        ;     Parent Loop BB2_570 Depth=2
                                        ;       Parent Loop BB2_648 Depth=3
                                        ; =>      This Inner Loop Header: Depth=4
	s_waitcnt vmcnt(0)
	v_add_co_u32 v14, vcc_lo, v5, s4
	v_add_co_ci_u32_e64 v15, null, s5, v6, vcc_lo
	v_add_co_u32 v16, vcc_lo, v2, s4
	v_add_co_ci_u32_e64 v17, null, s5, v3, vcc_lo
	flat_load_ubyte v12, v[14:15]
	global_load_ubyte v14, v[16:17], off
	s_or_b32 s17, s17, exec_lo
	s_or_b32 s18, s18, exec_lo
	s_mov_b32 s19, exec_lo
	s_waitcnt vmcnt(0) lgkmcnt(0)
	v_cmpx_eq_u16_e64 v12, v14
	s_cbranch_execz .LBB2_649
; %bb.651:                              ;   in Loop: Header=BB2_650 Depth=4
	s_add_u32 s4, s4, 1
	s_addc_u32 s5, s5, 0
	v_cmp_eq_u32_e32 vcc_lo, s4, v4
	s_andn2_b32 s18, s18, exec_lo
	s_andn2_b32 s17, s17, exec_lo
	s_and_b32 s20, vcc_lo, exec_lo
	s_or_b32 s18, s18, s20
	s_branch .LBB2_649
.LBB2_652:                              ;   in Loop: Header=BB2_648 Depth=3
	s_inst_prefetch 0x2
	s_or_b32 exec_lo, exec_lo, s16
	s_mov_b32 s4, -1
	s_mov_b32 s16, -1
	s_and_saveexec_b32 s5, s15
	s_xor_b32 s5, exec_lo, s5
; %bb.653:                              ;   in Loop: Header=BB2_648 Depth=3
	v_cmp_ne_u32_e32 vcc_lo, v13, v4
	s_orn2_b32 s16, vcc_lo, exec_lo
; %bb.654:                              ;   in Loop: Header=BB2_648 Depth=3
	s_or_b32 exec_lo, exec_lo, s5
	s_or_b32 s14, s14, exec_lo
                                        ; implicit-def: $vgpr5_vgpr6
                                        ; implicit-def: $vgpr13
	s_and_saveexec_b32 s5, s16
	s_cbranch_execz .LBB2_647
; %bb.655:                              ;   in Loop: Header=BB2_648 Depth=3
	v_add_nc_u32_e32 v5, 1, v11
	s_andn2_b32 s14, s14, exec_lo
	v_cmp_ne_u32_e32 vcc_lo, v5, v42
	v_cndmask_b32_e32 v11, 0, v5, vcc_lo
	v_mad_u64_u32 v[5:6], null, v11, 56, v[40:41]
	global_load_dword v13, v[5:6], off offset:8
	s_waitcnt vmcnt(0)
	v_cmp_eq_u32_e32 vcc_lo, -1, v13
	s_orn2_b32 s4, vcc_lo, exec_lo
	s_branch .LBB2_647
.LBB2_656:                              ;   in Loop: Header=BB2_570 Depth=2
	s_or_b32 exec_lo, exec_lo, s5
	s_andn2_saveexec_b32 s6, s6
	s_cbranch_execnz .LBB2_594
	s_branch .LBB2_601
.LBB2_657:                              ;   in Loop: Header=BB2_570 Depth=2
	v_mov_b32_e32 v6, v15
	s_mov_b32 s5, exec_lo
	v_cmpx_lt_i32_e32 6, v5
	s_cbranch_execz .LBB2_659
; %bb.658:                              ;   in Loop: Header=BB2_570 Depth=2
	global_load_ubyte v6, v[0:1], off offset:2
	s_waitcnt vmcnt(0)
	v_lshlrev_b32_e32 v6, 16, v6
	v_xor_b32_e32 v6, v6, v15
.LBB2_659:                              ;   in Loop: Header=BB2_570 Depth=2
	s_or_b32 exec_lo, exec_lo, s5
	global_load_ubyte v12, v[0:1], off offset:1
	s_mov_b32 s5, exec_lo
	s_waitcnt vmcnt(0)
	v_lshlrev_b32_e32 v12, 8, v12
	v_xor_b32_e32 v6, v12, v6
	s_andn2_saveexec_b32 s7, s7
	s_cbranch_execz .LBB2_598
.LBB2_660:                              ;   in Loop: Header=BB2_570 Depth=2
	v_cmp_eq_u32_e64 s4, 5, v5
	v_mov_b32_e32 v6, v15
	s_andn2_b32 s5, s5, exec_lo
	s_and_b32 s4, s4, exec_lo
	s_or_b32 s5, s5, s4
	s_or_b32 exec_lo, exec_lo, s7
	s_and_saveexec_b32 s4, s5
	s_cbranch_execnz .LBB2_599
	s_branch .LBB2_600
.LBB2_661:                              ;   in Loop: Header=BB2_570 Depth=2
	s_or_b32 exec_lo, exec_lo, s13
	v_mov_b32_e32 v12, 0x58
	s_mov_b32 s4, 0
	s_and_saveexec_b32 s5, s12
	s_xor_b32 s12, exec_lo, s5
	s_cbranch_execz .LBB2_567
; %bb.662:                              ;   in Loop: Header=BB2_570 Depth=2
	global_load_ubyte v12, v[0:1], off offset:48
	s_mov_b32 s13, 0
	s_mov_b32 s14, exec_lo
	s_waitcnt vmcnt(0)
	v_cmp_ne_u16_e64 s4, 0x58, v12
	v_cmp_ne_u16_e32 vcc_lo, 0x46, v12
	v_cmpx_lt_i16_e32 0x57, v12
	s_xor_b32 s14, exec_lo, s14
	s_cbranch_execnz .LBB2_684
; %bb.663:                              ;   in Loop: Header=BB2_570 Depth=2
	s_andn2_saveexec_b32 s14, s14
	s_cbranch_execnz .LBB2_685
.LBB2_664:                              ;   in Loop: Header=BB2_570 Depth=2
	s_or_b32 exec_lo, exec_lo, s14
	s_and_saveexec_b32 s14, s13
	s_cbranch_execz .LBB2_566
	s_branch .LBB2_686
.LBB2_665:                              ;   in Loop: Header=BB2_570 Depth=2
	global_load_ubyte v15, v[5:6], off offset:6
	s_mov_b32 s7, exec_lo
	s_waitcnt vmcnt(0)
	v_lshlrev_b32_e32 v15, 16, v15
	s_andn2_saveexec_b32 s12, s4
	s_cbranch_execz .LBB2_580
.LBB2_666:                              ;   in Loop: Header=BB2_570 Depth=2
	v_cmp_eq_u32_e64 s4, 2, v11
	v_mov_b32_e32 v15, 0
	s_andn2_b32 s7, s7, exec_lo
	s_and_b32 s4, s4, exec_lo
	s_or_b32 s7, s7, s4
	s_or_b32 exec_lo, exec_lo, s12
	v_mov_b32_e32 v19, 0
	s_and_saveexec_b32 s4, s7
	s_cbranch_execnz .LBB2_581
	s_branch .LBB2_582
.LBB2_667:                              ;   in Loop: Header=BB2_570 Depth=2
	global_load_ubyte v16, v[5:6], off offset:5
	s_mov_b32 s7, exec_lo
                                        ; implicit-def: $vgpr17
	s_waitcnt vmcnt(0)
	v_lshlrev_b32_e32 v16, 8, v16
	v_xor_b32_e32 v16, v16, v15
	s_andn2_saveexec_b32 s12, s4
	s_cbranch_execz .LBB2_584
.LBB2_668:                              ;   in Loop: Header=BB2_570 Depth=2
	v_cmp_eq_u32_e64 s4, 1, v17
	v_mov_b32_e32 v16, v15
	s_andn2_b32 s7, s7, exec_lo
	s_and_b32 s4, s4, exec_lo
	s_or_b32 s7, s7, s4
	s_or_b32 exec_lo, exec_lo, s12
	s_and_saveexec_b32 s4, s7
	s_cbranch_execnz .LBB2_585
	s_branch .LBB2_586
.LBB2_669:                              ;   in Loop: Header=BB2_570 Depth=2
	global_load_ubyte v5, v[5:6], off offset:5
	s_mov_b32 s7, exec_lo
	s_waitcnt vmcnt(0)
	v_lshlrev_b32_e32 v15, 8, v5
	s_andn2_saveexec_b32 s12, s4
	s_cbranch_execz .LBB2_590
.LBB2_670:                              ;   in Loop: Header=BB2_570 Depth=2
	v_cmp_eq_u32_e64 s4, 5, v14
	v_mov_b32_e32 v15, 0
	s_andn2_b32 s7, s7, exec_lo
	s_and_b32 s4, s4, exec_lo
	s_or_b32 s7, s7, s4
	s_or_b32 exec_lo, exec_lo, s12
	v_mov_b32_e32 v5, 0
	s_and_saveexec_b32 s4, s7
	s_cbranch_execnz .LBB2_591
	s_branch .LBB2_592
.LBB2_671:                              ;   in Loop: Header=BB2_570 Depth=2
	s_or_b32 exec_lo, exec_lo, s4
	s_andn2_saveexec_b32 s5, s5
	s_cbranch_execnz .LBB2_638
	s_branch .LBB2_645
.LBB2_672:                              ;   in Loop: Header=BB2_570 Depth=2
	v_mov_b32_e32 v6, v15
	s_mov_b32 s4, exec_lo
	v_cmpx_lt_i32_e32 6, v5
	s_cbranch_execz .LBB2_674
; %bb.673:                              ;   in Loop: Header=BB2_570 Depth=2
	global_load_ubyte v6, v[0:1], off offset:2
	s_waitcnt vmcnt(0)
	v_lshlrev_b32_e32 v6, 16, v6
	v_xor_b32_e32 v6, v6, v15
.LBB2_674:                              ;   in Loop: Header=BB2_570 Depth=2
	s_or_b32 exec_lo, exec_lo, s4
	global_load_ubyte v11, v[0:1], off offset:1
	s_mov_b32 s4, exec_lo
	s_waitcnt vmcnt(0)
	v_lshlrev_b32_e32 v11, 8, v11
	v_xor_b32_e32 v6, v11, v6
	s_andn2_saveexec_b32 s7, s7
	s_cbranch_execz .LBB2_642
.LBB2_675:                              ;   in Loop: Header=BB2_570 Depth=2
	v_cmp_eq_u32_e32 vcc_lo, 5, v5
	v_mov_b32_e32 v6, v15
	s_andn2_b32 s4, s4, exec_lo
	s_and_b32 s12, vcc_lo, exec_lo
	s_or_b32 s4, s4, s12
	s_or_b32 exec_lo, exec_lo, s7
	s_and_saveexec_b32 s7, s4
	s_cbranch_execnz .LBB2_643
	s_branch .LBB2_644
.LBB2_676:                              ;   in Loop: Header=BB2_570 Depth=2
	global_load_ubyte v15, v[5:6], off offset:6
	s_mov_b32 s7, exec_lo
	s_waitcnt vmcnt(0)
	v_lshlrev_b32_e32 v15, 16, v15
	s_andn2_saveexec_b32 s12, s12
	s_cbranch_execz .LBB2_624
.LBB2_677:                              ;   in Loop: Header=BB2_570 Depth=2
	v_cmp_eq_u32_e32 vcc_lo, 2, v11
	v_mov_b32_e32 v15, 0
	s_andn2_b32 s7, s7, exec_lo
	s_and_b32 s13, vcc_lo, exec_lo
	s_or_b32 s7, s7, s13
	s_or_b32 exec_lo, exec_lo, s12
	v_mov_b32_e32 v19, 0
	s_and_saveexec_b32 s12, s7
	s_cbranch_execnz .LBB2_625
	s_branch .LBB2_626
.LBB2_678:                              ;   in Loop: Header=BB2_570 Depth=2
	s_mov_b32 s13, exec_lo
                                        ; implicit-def: $vgpr11
	v_cmpx_eq_u32_e32 2, v16
	s_cbranch_execz .LBB2_680
; %bb.679:                              ;   in Loop: Header=BB2_570 Depth=2
	global_load_ubyte v11, v[5:6], off offset:5
	s_mov_b32 s7, exec_lo
	s_waitcnt vmcnt(0)
	v_lshlrev_b32_e32 v11, 8, v11
	v_xor_b32_e32 v11, v11, v15
.LBB2_680:                              ;   in Loop: Header=BB2_570 Depth=2
	s_or_b32 exec_lo, exec_lo, s13
	s_and_b32 s7, s7, exec_lo
                                        ; implicit-def: $vgpr16
	s_andn2_saveexec_b32 s12, s12
	s_cbranch_execz .LBB2_628
.LBB2_681:                              ;   in Loop: Header=BB2_570 Depth=2
	v_cmp_eq_u32_e32 vcc_lo, 1, v16
	v_mov_b32_e32 v11, v15
	s_andn2_b32 s7, s7, exec_lo
	s_and_b32 s13, vcc_lo, exec_lo
	s_or_b32 s7, s7, s13
	s_or_b32 exec_lo, exec_lo, s12
	s_and_saveexec_b32 s12, s7
	s_cbranch_execnz .LBB2_629
	s_branch .LBB2_630
.LBB2_682:                              ;   in Loop: Header=BB2_570 Depth=2
	global_load_ubyte v5, v[5:6], off offset:5
	s_mov_b32 s7, exec_lo
	s_waitcnt vmcnt(0)
	v_lshlrev_b32_e32 v11, 8, v5
	s_andn2_saveexec_b32 s12, s12
	s_cbranch_execz .LBB2_634
.LBB2_683:                              ;   in Loop: Header=BB2_570 Depth=2
	v_cmp_eq_u32_e32 vcc_lo, 5, v14
	v_mov_b32_e32 v11, 0
	s_andn2_b32 s7, s7, exec_lo
	s_and_b32 s13, vcc_lo, exec_lo
	s_or_b32 s7, s7, s13
	s_or_b32 exec_lo, exec_lo, s12
	v_mov_b32_e32 v5, 0
	s_and_saveexec_b32 s12, s7
	s_cbranch_execnz .LBB2_635
	s_branch .LBB2_636
.LBB2_684:                              ;   in Loop: Header=BB2_570 Depth=2
	v_cmp_ne_u16_e64 s5, 0x58, v12
	s_and_b32 s13, s5, exec_lo
	s_andn2_saveexec_b32 s14, s14
	s_cbranch_execz .LBB2_664
.LBB2_685:                              ;   in Loop: Header=BB2_570 Depth=2
	v_cmp_ne_u16_e64 s5, 0x46, v12
	s_andn2_b32 s13, s13, exec_lo
	s_and_b32 s5, s5, exec_lo
	s_or_b32 s13, s13, s5
	s_or_b32 exec_lo, exec_lo, s14
	s_and_saveexec_b32 s14, s13
	s_cbranch_execz .LBB2_566
.LBB2_686:                              ;   in Loop: Header=BB2_570 Depth=2
	v_add_co_u32 v0, s5, v2, v4
	v_add_co_ci_u32_e64 v1, null, 0, v3, s5
	v_add_co_u32 v2, s5, v2, 1
	v_add_co_ci_u32_e64 v3, null, 0, v3, s5
	v_cmp_ne_u16_e64 s5, 0, v12
	global_store_byte v[0:1], v12, off
	v_mov_b32_e32 v12, v10
	v_add_co_ci_u32_e64 v7, null, 0, v7, s5
	s_branch .LBB2_566
.LBB2_687:                              ;   in Loop: Header=BB2_13 Depth=1
	s_or_b32 exec_lo, exec_lo, s10
	v_cmp_eq_u16_sdwa s5, v12, v84 src0_sel:BYTE_0 src1_sel:DWORD
	s_mov_b32 s10, exec_lo
	v_cmpx_gt_i32_e64 v7, v87
	s_cbranch_execnz .LBB2_689
	s_branch .LBB2_693
.LBB2_688:                              ;   in Loop: Header=BB2_13 Depth=1
	v_mov_b32_e32 v7, 0
	s_mov_b32 s5, -1
	s_mov_b32 s10, exec_lo
	v_cmpx_gt_i32_e64 v7, v87
	s_cbranch_execz .LBB2_693
.LBB2_689:                              ;   in Loop: Header=BB2_13 Depth=1
	s_mov_b32 s11, exec_lo
	v_cmpx_lt_i32_e32 0, v7
	s_cbranch_execz .LBB2_692
; %bb.690:                              ;   in Loop: Header=BB2_13 Depth=1
	v_add_co_u32 v0, vcc_lo, v61, v4
	v_add_co_ci_u32_e64 v1, null, 0, v62, vcc_lo
	s_mov_b64 s[6:7], 0
	s_mov_b32 s12, 0
	.p2align	6
.LBB2_691:                              ;   Parent Loop BB2_13 Depth=1
                                        ; =>  This Inner Loop Header: Depth=2
	v_add_co_u32 v2, vcc_lo, v0, s6
	v_add_co_ci_u32_e64 v3, null, s7, v1, vcc_lo
	global_load_ubyte v5, v[2:3], off
	v_add_co_u32 v2, vcc_lo, v65, s6
	s_add_u32 s6, s6, 1
	v_add_co_ci_u32_e64 v3, null, s7, v66, vcc_lo
	v_cmp_eq_u32_e64 s4, s6, v7
	s_addc_u32 s7, s7, 0
	s_or_b32 s12, s4, s12
	s_waitcnt vmcnt(0)
	global_store_byte v[2:3], v5, off
	s_andn2_b32 exec_lo, exec_lo, s12
	s_cbranch_execnz .LBB2_691
.LBB2_692:                              ;   in Loop: Header=BB2_13 Depth=1
	s_or_b32 exec_lo, exec_lo, s11
	v_mov_b32_e32 v87, v7
.LBB2_693:                              ;   in Loop: Header=BB2_13 Depth=1
	s_or_b32 exec_lo, exec_lo, s10
	s_xor_b32 s5, s5, -1
	s_mov_b32 s4, 0
	s_and_saveexec_b32 s6, s5
	s_xor_b32 s5, exec_lo, s6
; %bb.694:                              ;   in Loop: Header=BB2_13 Depth=1
	v_cmp_ne_u32_e32 vcc_lo, -8, v85
                                        ; implicit-def: $vgpr85
	s_and_b32 s4, vcc_lo, exec_lo
; %bb.695:                              ;   in Loop: Header=BB2_13 Depth=1
	s_or_saveexec_b32 s5, s5
	v_mov_b32_e32 v3, -8
	v_mov_b32_e32 v1, 8
	s_xor_b32 exec_lo, exec_lo, s5
; %bb.696:                              ;   in Loop: Header=BB2_13 Depth=1
	v_cmp_ne_u32_e32 vcc_lo, 8, v85
	v_mov_b32_e32 v3, 8
	v_mov_b32_e32 v1, -8
	s_andn2_b32 s4, s4, exec_lo
	s_and_b32 s6, vcc_lo, exec_lo
	s_or_b32 s4, s4, s6
; %bb.697:                              ;   in Loop: Header=BB2_13 Depth=1
	s_or_b32 exec_lo, exec_lo, s5
	v_mov_b32_e32 v2, 11
	v_mov_b32_e32 v0, 0
	;; [unrolled: 1-line block ×3, first 2 shown]
	s_and_saveexec_b32 s5, s4
; %bb.698:                              ;   in Loop: Header=BB2_13 Depth=1
	v_mov_b32_e32 v2, 0
	v_mov_b32_e32 v0, v86
	v_mov_b32_e32 v85, v1
; %bb.699:                              ;   in Loop: Header=BB2_13 Depth=1
	s_or_b32 exec_lo, exec_lo, s5
	s_mov_b32 s4, -1
	s_mov_b32 s5, exec_lo
	v_cmpx_gt_i32_e32 11, v2
; %bb.700:                              ;   in Loop: Header=BB2_13 Depth=1
	v_cmp_eq_u32_e32 vcc_lo, 0, v2
	s_orn2_b32 s4, vcc_lo, exec_lo
; %bb.701:                              ;   in Loop: Header=BB2_13 Depth=1
	s_or_b32 exec_lo, exec_lo, s5
	v_mov_b32_e32 v86, v0
	s_orn2_b32 s4, s4, exec_lo
.LBB2_702:                              ;   in Loop: Header=BB2_13 Depth=1
	s_or_b32 exec_lo, exec_lo, s9
	s_and_saveexec_b32 s5, s4
	s_cbranch_execz .LBB2_12
; %bb.703:                              ;   in Loop: Header=BB2_13 Depth=1
	ds_bpermute_b32 v86, v44, v86
	s_mov_b32 s4, -1
	s_mov_b32 s6, exec_lo
	s_waitcnt lgkmcnt(0)
	v_cmpx_ne_u32_e32 0, v86
	s_cbranch_execz .LBB2_11
; %bb.704:                              ;   in Loop: Header=BB2_13 Depth=1
	ds_bpermute_b32 v85, v44, v85
	s_waitcnt lgkmcnt(0)
	v_add_nc_u32_e32 v4, v85, v4
	v_cmp_gt_i32_e32 vcc_lo, 21, v4
	v_cmp_gt_i32_e64 s4, v4, v79
	s_or_b32 s4, vcc_lo, s4
	s_orn2_b32 s4, s4, exec_lo
	s_branch .LBB2_11
.LBB2_705:
	s_or_b32 exec_lo, exec_lo, s62
	v_max_i32_e32 v0, 0, v87
.LBB2_706:
	s_or_b32 exec_lo, exec_lo, s48
	v_cmp_eq_u32_e32 vcc_lo, 0, v67
	s_and_b32 exec_lo, exec_lo, vcc_lo
	s_cbranch_execz .LBB2_708
; %bb.707:
	global_store_dword v47, v0, s[56:57]
.LBB2_708:
	s_endpgm
	.section	.rodata,"a",@progbits
	.p2align	6, 0x0
	.amdhsa_kernel _Z22iterative_walks_kernelILi64EEvPjS0_PcS1_S1_S0_S0_PdP6loc_htS0_P11loc_ht_boolijS0_llliijS1_S1_S0_i
		.amdhsa_group_segment_fixed_size 0
		.amdhsa_private_segment_fixed_size 96
		.amdhsa_kernarg_size 432
		.amdhsa_user_sgpr_count 6
		.amdhsa_user_sgpr_private_segment_buffer 1
		.amdhsa_user_sgpr_dispatch_ptr 0
		.amdhsa_user_sgpr_queue_ptr 0
		.amdhsa_user_sgpr_kernarg_segment_ptr 1
		.amdhsa_user_sgpr_dispatch_id 0
		.amdhsa_user_sgpr_flat_scratch_init 0
		.amdhsa_user_sgpr_private_segment_size 0
		.amdhsa_wavefront_size32 1
		.amdhsa_uses_dynamic_stack 0
		.amdhsa_system_sgpr_private_segment_wavefront_offset 1
		.amdhsa_system_sgpr_workgroup_id_x 1
		.amdhsa_system_sgpr_workgroup_id_y 0
		.amdhsa_system_sgpr_workgroup_id_z 0
		.amdhsa_system_sgpr_workgroup_info 0
		.amdhsa_system_vgpr_workitem_id 0
		.amdhsa_next_free_vgpr 96
		.amdhsa_next_free_sgpr 69
		.amdhsa_reserve_vcc 1
		.amdhsa_reserve_flat_scratch 0
		.amdhsa_float_round_mode_32 0
		.amdhsa_float_round_mode_16_64 0
		.amdhsa_float_denorm_mode_32 3
		.amdhsa_float_denorm_mode_16_64 3
		.amdhsa_dx10_clamp 1
		.amdhsa_ieee_mode 1
		.amdhsa_fp16_overflow 0
		.amdhsa_workgroup_processor_mode 1
		.amdhsa_memory_ordered 1
		.amdhsa_forward_progress 1
		.amdhsa_shared_vgpr_count 0
		.amdhsa_exception_fp_ieee_invalid_op 0
		.amdhsa_exception_fp_denorm_src 0
		.amdhsa_exception_fp_ieee_div_zero 0
		.amdhsa_exception_fp_ieee_overflow 0
		.amdhsa_exception_fp_ieee_underflow 0
		.amdhsa_exception_fp_ieee_inexact 0
		.amdhsa_exception_int_div_zero 0
	.end_amdhsa_kernel
	.section	.text._Z22iterative_walks_kernelILi64EEvPjS0_PcS1_S1_S0_S0_PdP6loc_htS0_P11loc_ht_boolijS0_llliijS1_S1_S0_i,"axG",@progbits,_Z22iterative_walks_kernelILi64EEvPjS0_PcS1_S1_S0_S0_PdP6loc_htS0_P11loc_ht_boolijS0_llliijS1_S1_S0_i,comdat
.Lfunc_end2:
	.size	_Z22iterative_walks_kernelILi64EEvPjS0_PcS1_S1_S0_S0_PdP6loc_htS0_P11loc_ht_boolijS0_llliijS1_S1_S0_i, .Lfunc_end2-_Z22iterative_walks_kernelILi64EEvPjS0_PcS1_S1_S0_S0_PdP6loc_htS0_P11loc_ht_boolijS0_llliijS1_S1_S0_i
                                        ; -- End function
	.set _Z22iterative_walks_kernelILi64EEvPjS0_PcS1_S1_S0_S0_PdP6loc_htS0_P11loc_ht_boolijS0_llliijS1_S1_S0_i.num_vgpr, max(96, .L_Z13ht_get_atomicP6loc_ht9cstr_typej.num_vgpr)
	.set _Z22iterative_walks_kernelILi64EEvPjS0_PcS1_S1_S0_S0_PdP6loc_htS0_P11loc_ht_boolijS0_llliijS1_S1_S0_i.num_agpr, max(0, .L_Z13ht_get_atomicP6loc_ht9cstr_typej.num_agpr)
	.set _Z22iterative_walks_kernelILi64EEvPjS0_PcS1_S1_S0_S0_PdP6loc_htS0_P11loc_ht_boolijS0_llliijS1_S1_S0_i.numbered_sgpr, max(69, .L_Z13ht_get_atomicP6loc_ht9cstr_typej.numbered_sgpr)
	.set _Z22iterative_walks_kernelILi64EEvPjS0_PcS1_S1_S0_S0_PdP6loc_htS0_P11loc_ht_boolijS0_llliijS1_S1_S0_i.num_named_barrier, max(0, .L_Z13ht_get_atomicP6loc_ht9cstr_typej.num_named_barrier)
	.set _Z22iterative_walks_kernelILi64EEvPjS0_PcS1_S1_S0_S0_PdP6loc_htS0_P11loc_ht_boolijS0_llliijS1_S1_S0_i.private_seg_size, 96+max(.L_Z13ht_get_atomicP6loc_ht9cstr_typej.private_seg_size)
	.set _Z22iterative_walks_kernelILi64EEvPjS0_PcS1_S1_S0_S0_PdP6loc_htS0_P11loc_ht_boolijS0_llliijS1_S1_S0_i.uses_vcc, or(1, .L_Z13ht_get_atomicP6loc_ht9cstr_typej.uses_vcc)
	.set _Z22iterative_walks_kernelILi64EEvPjS0_PcS1_S1_S0_S0_PdP6loc_htS0_P11loc_ht_boolijS0_llliijS1_S1_S0_i.uses_flat_scratch, or(0, .L_Z13ht_get_atomicP6loc_ht9cstr_typej.uses_flat_scratch)
	.set _Z22iterative_walks_kernelILi64EEvPjS0_PcS1_S1_S0_S0_PdP6loc_htS0_P11loc_ht_boolijS0_llliijS1_S1_S0_i.has_dyn_sized_stack, or(0, .L_Z13ht_get_atomicP6loc_ht9cstr_typej.has_dyn_sized_stack)
	.set _Z22iterative_walks_kernelILi64EEvPjS0_PcS1_S1_S0_S0_PdP6loc_htS0_P11loc_ht_boolijS0_llliijS1_S1_S0_i.has_recursion, or(0, .L_Z13ht_get_atomicP6loc_ht9cstr_typej.has_recursion)
	.set _Z22iterative_walks_kernelILi64EEvPjS0_PcS1_S1_S0_S0_PdP6loc_htS0_P11loc_ht_boolijS0_llliijS1_S1_S0_i.has_indirect_call, or(0, .L_Z13ht_get_atomicP6loc_ht9cstr_typej.has_indirect_call)
	.section	.AMDGPU.csdata,"",@progbits
; Kernel info:
; codeLenInByte = 23252
; TotalNumSgprs: 71
; NumVgprs: 96
; ScratchSize: 96
; MemoryBound: 0
; FloatMode: 240
; IeeeMode: 1
; LDSByteSize: 0 bytes/workgroup (compile time only)
; SGPRBlocks: 0
; VGPRBlocks: 11
; NumSGPRsForWavesPerEU: 71
; NumVGPRsForWavesPerEU: 96
; Occupancy: 10
; WaveLimiterHint : 1
; COMPUTE_PGM_RSRC2:SCRATCH_EN: 1
; COMPUTE_PGM_RSRC2:USER_SGPR: 6
; COMPUTE_PGM_RSRC2:TRAP_HANDLER: 0
; COMPUTE_PGM_RSRC2:TGID_X_EN: 1
; COMPUTE_PGM_RSRC2:TGID_Y_EN: 0
; COMPUTE_PGM_RSRC2:TGID_Z_EN: 0
; COMPUTE_PGM_RSRC2:TIDIG_COMP_CNT: 0
	.text
	.p2alignl 6, 3214868480
	.fill 48, 4, 3214868480
	.section	.AMDGPU.gpr_maximums,"",@progbits
	.set amdgpu.max_num_vgpr, 51
	.set amdgpu.max_num_agpr, 0
	.set amdgpu.max_num_sgpr, 32
	.text
	.type	.str.2,@object                  ; @.str.2
	.section	.rodata.str1.1,"aMS",@progbits,1
.str.2:
	.asciz	"*****end reached, hashtable full*****\n"
	.size	.str.2, 39

	.type	.str.3,@object                  ; @.str.3
.str.3:
	.asciz	"*********ASSERTION FAILURE IN COUNT_MERS****"
	.size	.str.3, 45

	.type	.str.4,@object                  ; @.str.4
.str.4:
	.asciz	"******* ASSERTION FAILED IN sort_merbase************"
	.size	.str.4, 53

	.type	__hip_cuid_1bbd9032142a0124,@object ; @__hip_cuid_1bbd9032142a0124
	.section	.bss,"aw",@nobits
	.globl	__hip_cuid_1bbd9032142a0124
__hip_cuid_1bbd9032142a0124:
	.byte	0                               ; 0x0
	.size	__hip_cuid_1bbd9032142a0124, 1

	.ident	"AMD clang version 22.0.0git (https://github.com/RadeonOpenCompute/llvm-project roc-7.2.4 26084 f58b06dce1f9c15707c5f808fd002e18c2accf7e)"
	.section	".note.GNU-stack","",@progbits
	.addrsig
	.addrsig_sym __hip_cuid_1bbd9032142a0124
	.amdgpu_metadata
---
amdhsa.kernels:
  - .args:
      - .address_space:  global
        .offset:         0
        .size:           8
        .value_kind:     global_buffer
      - .address_space:  global
        .offset:         8
        .size:           8
        .value_kind:     global_buffer
      - .address_space:  global
        .offset:         16
        .size:           8
        .value_kind:     global_buffer
      - .address_space:  global
        .offset:         24
        .size:           8
        .value_kind:     global_buffer
      - .address_space:  global
        .offset:         32
        .size:           8
        .value_kind:     global_buffer
      - .address_space:  global
        .offset:         40
        .size:           8
        .value_kind:     global_buffer
      - .address_space:  global
        .offset:         48
        .size:           8
        .value_kind:     global_buffer
      - .address_space:  global
        .offset:         56
        .size:           8
        .value_kind:     global_buffer
      - .address_space:  global
        .offset:         64
        .size:           8
        .value_kind:     global_buffer
      - .address_space:  global
        .offset:         72
        .size:           8
        .value_kind:     global_buffer
      - .address_space:  global
        .offset:         80
        .size:           8
        .value_kind:     global_buffer
      - .offset:         88
        .size:           4
        .value_kind:     by_value
      - .offset:         92
        .size:           4
        .value_kind:     by_value
      - .address_space:  global
        .offset:         96
        .size:           8
        .value_kind:     global_buffer
      - .offset:         104
        .size:           8
        .value_kind:     by_value
      - .offset:         112
        .size:           8
        .value_kind:     by_value
      - .offset:         120
        .size:           8
        .value_kind:     by_value
      - .offset:         128
        .size:           4
        .value_kind:     by_value
      - .offset:         132
        .size:           4
        .value_kind:     by_value
      - .offset:         136
        .size:           4
        .value_kind:     by_value
      - .address_space:  global
        .offset:         144
        .size:           8
        .value_kind:     global_buffer
      - .address_space:  global
        .offset:         152
        .size:           8
        .value_kind:     global_buffer
      - .address_space:  global
        .offset:         160
        .size:           8
        .value_kind:     global_buffer
      - .offset:         168
        .size:           4
        .value_kind:     by_value
      - .offset:         176
        .size:           4
        .value_kind:     hidden_block_count_x
      - .offset:         180
        .size:           4
        .value_kind:     hidden_block_count_y
      - .offset:         184
        .size:           4
        .value_kind:     hidden_block_count_z
      - .offset:         188
        .size:           2
        .value_kind:     hidden_group_size_x
      - .offset:         190
        .size:           2
        .value_kind:     hidden_group_size_y
      - .offset:         192
        .size:           2
        .value_kind:     hidden_group_size_z
      - .offset:         194
        .size:           2
        .value_kind:     hidden_remainder_x
      - .offset:         196
        .size:           2
        .value_kind:     hidden_remainder_y
      - .offset:         198
        .size:           2
        .value_kind:     hidden_remainder_z
      - .offset:         216
        .size:           8
        .value_kind:     hidden_global_offset_x
      - .offset:         224
        .size:           8
        .value_kind:     hidden_global_offset_y
      - .offset:         232
        .size:           8
        .value_kind:     hidden_global_offset_z
      - .offset:         240
        .size:           2
        .value_kind:     hidden_grid_dims
      - .offset:         256
        .size:           8
        .value_kind:     hidden_hostcall_buffer
    .group_segment_fixed_size: 0
    .kernarg_segment_align: 8
    .kernarg_segment_size: 432
    .language:       OpenCL C
    .language_version:
      - 2
      - 0
    .max_flat_workgroup_size: 1024
    .name:           _Z22iterative_walks_kernelILi32EEvPjS0_PcS1_S1_S0_S0_PdP6loc_htS0_P11loc_ht_boolijS0_llliijS1_S1_S0_i
    .private_segment_fixed_size: 96
    .sgpr_count:     71
    .sgpr_spill_count: 0
    .symbol:         _Z22iterative_walks_kernelILi32EEvPjS0_PcS1_S1_S0_S0_PdP6loc_htS0_P11loc_ht_boolijS0_llliijS1_S1_S0_i.kd
    .uniform_work_group_size: 1
    .uses_dynamic_stack: false
    .vgpr_count:     96
    .vgpr_spill_count: 0
    .wavefront_size: 32
    .workgroup_processor_mode: 1
  - .args:
      - .address_space:  global
        .offset:         0
        .size:           8
        .value_kind:     global_buffer
      - .address_space:  global
        .offset:         8
        .size:           8
        .value_kind:     global_buffer
      - .address_space:  global
        .offset:         16
        .size:           8
        .value_kind:     global_buffer
      - .address_space:  global
        .offset:         24
        .size:           8
        .value_kind:     global_buffer
      - .address_space:  global
        .offset:         32
        .size:           8
        .value_kind:     global_buffer
      - .address_space:  global
        .offset:         40
        .size:           8
        .value_kind:     global_buffer
      - .address_space:  global
        .offset:         48
        .size:           8
        .value_kind:     global_buffer
      - .address_space:  global
        .offset:         56
        .size:           8
        .value_kind:     global_buffer
      - .address_space:  global
        .offset:         64
        .size:           8
        .value_kind:     global_buffer
      - .address_space:  global
        .offset:         72
        .size:           8
        .value_kind:     global_buffer
      - .address_space:  global
        .offset:         80
        .size:           8
        .value_kind:     global_buffer
      - .offset:         88
        .size:           4
        .value_kind:     by_value
      - .offset:         92
        .size:           4
        .value_kind:     by_value
      - .address_space:  global
        .offset:         96
        .size:           8
        .value_kind:     global_buffer
      - .offset:         104
        .size:           8
        .value_kind:     by_value
      - .offset:         112
        .size:           8
        .value_kind:     by_value
      - .offset:         120
        .size:           8
        .value_kind:     by_value
      - .offset:         128
        .size:           4
        .value_kind:     by_value
      - .offset:         132
        .size:           4
        .value_kind:     by_value
      - .offset:         136
        .size:           4
        .value_kind:     by_value
      - .address_space:  global
        .offset:         144
        .size:           8
        .value_kind:     global_buffer
      - .address_space:  global
        .offset:         152
        .size:           8
        .value_kind:     global_buffer
      - .address_space:  global
        .offset:         160
        .size:           8
        .value_kind:     global_buffer
      - .offset:         168
        .size:           4
        .value_kind:     by_value
      - .offset:         176
        .size:           4
        .value_kind:     hidden_block_count_x
      - .offset:         180
        .size:           4
        .value_kind:     hidden_block_count_y
      - .offset:         184
        .size:           4
        .value_kind:     hidden_block_count_z
      - .offset:         188
        .size:           2
        .value_kind:     hidden_group_size_x
      - .offset:         190
        .size:           2
        .value_kind:     hidden_group_size_y
      - .offset:         192
        .size:           2
        .value_kind:     hidden_group_size_z
      - .offset:         194
        .size:           2
        .value_kind:     hidden_remainder_x
      - .offset:         196
        .size:           2
        .value_kind:     hidden_remainder_y
      - .offset:         198
        .size:           2
        .value_kind:     hidden_remainder_z
      - .offset:         216
        .size:           8
        .value_kind:     hidden_global_offset_x
      - .offset:         224
        .size:           8
        .value_kind:     hidden_global_offset_y
      - .offset:         232
        .size:           8
        .value_kind:     hidden_global_offset_z
      - .offset:         240
        .size:           2
        .value_kind:     hidden_grid_dims
      - .offset:         256
        .size:           8
        .value_kind:     hidden_hostcall_buffer
    .group_segment_fixed_size: 0
    .kernarg_segment_align: 8
    .kernarg_segment_size: 432
    .language:       OpenCL C
    .language_version:
      - 2
      - 0
    .max_flat_workgroup_size: 1024
    .name:           _Z22iterative_walks_kernelILi64EEvPjS0_PcS1_S1_S0_S0_PdP6loc_htS0_P11loc_ht_boolijS0_llliijS1_S1_S0_i
    .private_segment_fixed_size: 96
    .sgpr_count:     71
    .sgpr_spill_count: 0
    .symbol:         _Z22iterative_walks_kernelILi64EEvPjS0_PcS1_S1_S0_S0_PdP6loc_htS0_P11loc_ht_boolijS0_llliijS1_S1_S0_i.kd
    .uniform_work_group_size: 1
    .uses_dynamic_stack: false
    .vgpr_count:     96
    .vgpr_spill_count: 0
    .wavefront_size: 32
    .workgroup_processor_mode: 1
amdhsa.target:   amdgcn-amd-amdhsa--gfx1030
amdhsa.version:
  - 1
  - 2
...

	.end_amdgpu_metadata
